;; amdgpu-corpus repo=ROCm/rocFFT kind=compiled arch=gfx906 opt=O3
	.text
	.amdgcn_target "amdgcn-amd-amdhsa--gfx906"
	.amdhsa_code_object_version 6
	.protected	bluestein_single_back_len510_dim1_sp_op_CI_CI ; -- Begin function bluestein_single_back_len510_dim1_sp_op_CI_CI
	.globl	bluestein_single_back_len510_dim1_sp_op_CI_CI
	.p2align	8
	.type	bluestein_single_back_len510_dim1_sp_op_CI_CI,@function
bluestein_single_back_len510_dim1_sp_op_CI_CI: ; @bluestein_single_back_len510_dim1_sp_op_CI_CI
; %bb.0:
	v_mul_u32_u24_e32 v1, 0x788, v0
	s_load_dwordx4 s[0:3], s[4:5], 0x28
	v_lshrrev_b32_e32 v1, 16, v1
	v_mad_u64_u32 v[76:77], s[6:7], s6, 7, v[1:2]
	v_mov_b32_e32 v77, 0
	s_waitcnt lgkmcnt(0)
	v_cmp_gt_u64_e32 vcc, s[0:1], v[76:77]
	s_and_saveexec_b64 s[0:1], vcc
	s_cbranch_execz .LBB0_23
; %bb.1:
	s_mov_b32 s0, 0x24924925
	v_mul_hi_u32 v2, v76, s0
	s_load_dwordx2 s[6:7], s[4:5], 0x0
	s_load_dwordx2 s[12:13], s[4:5], 0x38
	v_mul_lo_u16_e32 v1, 34, v1
	v_sub_u16_e32 v103, v0, v1
	v_sub_u32_e32 v3, v76, v2
	v_lshrrev_b32_e32 v3, 1, v3
	v_add_u32_e32 v2, v3, v2
	v_lshrrev_b32_e32 v2, 2, v2
	v_mul_lo_u32 v2, v2, 7
	v_cmp_gt_u16_e64 s[0:1], 30, v103
	v_lshlrev_b32_e32 v104, 3, v103
	v_sub_u32_e32 v0, v76, v2
	v_mul_u32_u24_e32 v40, 0x1fe, v0
	v_lshlrev_b32_e32 v201, 3, v40
	s_and_saveexec_b64 s[14:15], s[0:1]
	s_cbranch_execz .LBB0_3
; %bb.2:
	s_load_dwordx2 s[8:9], s[4:5], 0x18
	v_or_b32_e32 v63, 0x1e0, v103
	s_waitcnt lgkmcnt(0)
	s_load_dwordx4 s[8:11], s[8:9], 0x0
	s_waitcnt lgkmcnt(0)
	v_mad_u64_u32 v[0:1], s[16:17], s10, v76, 0
	v_mad_u64_u32 v[2:3], s[16:17], s8, v103, 0
	;; [unrolled: 1-line block ×5, first 2 shown]
	v_mov_b32_e32 v1, v4
	v_lshlrev_b64 v[0:1], 3, v[0:1]
	v_mov_b32_e32 v3, v5
	v_mov_b32_e32 v6, s3
	v_lshlrev_b64 v[2:3], 3, v[2:3]
	v_add_co_u32_e32 v70, vcc, s2, v0
	v_addc_co_u32_e32 v71, vcc, v6, v1, vcc
	v_add_co_u32_e32 v0, vcc, v70, v2
	s_mul_i32 s2, s9, 0xf0
	s_mul_hi_u32 s3, s8, 0xf0
	v_addc_co_u32_e32 v1, vcc, v71, v3, vcc
	s_add_i32 s3, s3, s2
	s_mul_i32 s2, s8, 0xf0
	v_mov_b32_e32 v3, s3
	v_add_co_u32_e32 v2, vcc, s2, v0
	v_addc_co_u32_e32 v3, vcc, v1, v3, vcc
	v_mov_b32_e32 v5, s3
	v_add_co_u32_e32 v4, vcc, s2, v2
	v_addc_co_u32_e32 v5, vcc, v3, v5, vcc
	;; [unrolled: 3-line block ×3, first 2 shown]
	global_load_dwordx2 v[8:9], v[0:1], off
	global_load_dwordx2 v[10:11], v[2:3], off
	;; [unrolled: 1-line block ×4, first 2 shown]
	global_load_dwordx2 v[16:17], v104, s[6:7]
	global_load_dwordx2 v[18:19], v104, s[6:7] offset:240
	global_load_dwordx2 v[20:21], v104, s[6:7] offset:480
	;; [unrolled: 1-line block ×3, first 2 shown]
	v_mov_b32_e32 v1, s3
	v_add_co_u32_e32 v0, vcc, s2, v6
	v_addc_co_u32_e32 v1, vcc, v7, v1, vcc
	global_load_dwordx2 v[2:3], v[0:1], off
	v_mov_b32_e32 v4, s3
	v_add_co_u32_e32 v0, vcc, s2, v0
	v_addc_co_u32_e32 v1, vcc, v1, v4, vcc
	global_load_dwordx2 v[4:5], v[0:1], off
	;; [unrolled: 4-line block ×4, first 2 shown]
	global_load_dwordx2 v[26:27], v104, s[6:7] offset:960
	global_load_dwordx2 v[28:29], v104, s[6:7] offset:1200
	;; [unrolled: 1-line block ×4, first 2 shown]
	v_mov_b32_e32 v34, s3
	v_add_co_u32_e32 v0, vcc, s2, v0
	v_addc_co_u32_e32 v1, vcc, v1, v34, vcc
	global_load_dwordx2 v[34:35], v[0:1], off
	v_mov_b32_e32 v36, s3
	v_add_co_u32_e32 v0, vcc, s2, v0
	v_addc_co_u32_e32 v1, vcc, v1, v36, vcc
	global_load_dwordx2 v[36:37], v[0:1], off
	v_mov_b32_e32 v38, s3
	v_add_co_u32_e32 v0, vcc, s2, v0
	v_addc_co_u32_e32 v1, vcc, v1, v38, vcc
	global_load_dwordx2 v[38:39], v[0:1], off
	v_mov_b32_e32 v41, s3
	v_add_co_u32_e32 v0, vcc, s2, v0
	v_addc_co_u32_e32 v1, vcc, v1, v41, vcc
	global_load_dwordx2 v[41:42], v[0:1], off
	global_load_dwordx2 v[43:44], v104, s[6:7] offset:1920
	global_load_dwordx2 v[45:46], v104, s[6:7] offset:2160
	;; [unrolled: 1-line block ×4, first 2 shown]
	v_mov_b32_e32 v51, s3
	v_add_co_u32_e32 v0, vcc, s2, v0
	v_addc_co_u32_e32 v1, vcc, v1, v51, vcc
	global_load_dwordx2 v[51:52], v[0:1], off
	global_load_dwordx2 v[53:54], v104, s[6:7] offset:2880
	v_mov_b32_e32 v55, s3
	v_add_co_u32_e32 v0, vcc, s2, v0
	v_addc_co_u32_e32 v1, vcc, v1, v55, vcc
	global_load_dwordx2 v[55:56], v[0:1], off
	v_mov_b32_e32 v57, s3
	v_add_co_u32_e32 v0, vcc, s2, v0
	v_addc_co_u32_e32 v1, vcc, v1, v57, vcc
	global_load_dwordx2 v[57:58], v[0:1], off
	v_mov_b32_e32 v61, s3
	v_add_co_u32_e32 v0, vcc, s2, v0
	v_addc_co_u32_e32 v1, vcc, v1, v61, vcc
	global_load_dwordx2 v[61:62], v104, s[6:7] offset:3120
	s_waitcnt vmcnt(0)
	v_mad_u64_u32 v[63:64], s[2:3], s9, v63, v[60:61]
	global_load_dwordx2 v[64:65], v[0:1], off
	global_load_dwordx2 v[66:67], v104, s[6:7] offset:3360
	global_load_dwordx2 v[68:69], v104, s[6:7] offset:3600
	v_mov_b32_e32 v60, v63
	v_lshlrev_b64 v[0:1], 3, v[59:60]
	v_lshl_add_u32 v63, v103, 3, v201
	v_add_co_u32_e32 v0, vcc, v70, v0
	v_addc_co_u32_e32 v1, vcc, v71, v1, vcc
	global_load_dwordx2 v[59:60], v[0:1], off
	global_load_dwordx2 v[70:71], v104, s[6:7] offset:3840
	v_mul_f32_e32 v0, v9, v17
	v_mul_f32_e32 v1, v8, v17
	v_fmac_f32_e32 v0, v8, v16
	v_fma_f32 v1, v9, v16, -v1
	ds_write_b64 v63, v[0:1]
	v_mul_f32_e32 v0, v11, v19
	v_mul_f32_e32 v1, v10, v19
	;; [unrolled: 1-line block ×4, first 2 shown]
	v_fmac_f32_e32 v0, v10, v18
	v_add_u32_e32 v16, v201, v104
	v_fma_f32 v1, v11, v18, -v1
	v_fmac_f32_e32 v8, v12, v20
	v_fma_f32 v9, v13, v20, -v9
	ds_write2_b64 v16, v[0:1], v[8:9] offset0:30 offset1:60
	v_mul_f32_e32 v8, v3, v27
	v_mul_f32_e32 v0, v15, v23
	;; [unrolled: 1-line block ×3, first 2 shown]
	v_fmac_f32_e32 v8, v2, v26
	v_mul_f32_e32 v2, v2, v27
	v_fmac_f32_e32 v0, v14, v22
	v_fma_f32 v1, v15, v22, -v1
	v_fma_f32 v9, v3, v26, -v2
	ds_write2_b64 v16, v[0:1], v[8:9] offset0:90 offset1:120
	v_mul_f32_e32 v0, v5, v29
	v_mul_f32_e32 v1, v4, v29
	v_mul_f32_e32 v2, v7, v31
	v_mul_f32_e32 v3, v6, v31
	v_fmac_f32_e32 v0, v4, v28
	v_fma_f32 v1, v5, v28, -v1
	v_fmac_f32_e32 v2, v6, v30
	v_fma_f32 v3, v7, v30, -v3
	ds_write2_b64 v16, v[0:1], v[2:3] offset0:150 offset1:180
	v_mul_f32_e32 v0, v25, v33
	v_mul_f32_e32 v1, v24, v33
	v_mul_f32_e32 v2, v35, v44
	v_mul_f32_e32 v3, v34, v44
	v_fmac_f32_e32 v0, v24, v32
	v_fma_f32 v1, v25, v32, -v1
	v_fmac_f32_e32 v2, v34, v43
	;; [unrolled: 9-line block ×3, first 2 shown]
	v_fma_f32 v3, v39, v47, -v3
	v_add_u32_e32 v4, 0x800, v16
	ds_write2_b64 v4, v[0:1], v[2:3] offset0:14 offset1:44
	v_mul_f32_e32 v0, v42, v50
	v_mul_f32_e32 v1, v41, v50
	;; [unrolled: 1-line block ×4, first 2 shown]
	v_fmac_f32_e32 v0, v41, v49
	v_fma_f32 v1, v42, v49, -v1
	v_fmac_f32_e32 v2, v51, v53
	v_fma_f32 v3, v52, v53, -v3
	ds_write2_b64 v4, v[0:1], v[2:3] offset0:74 offset1:104
	v_mul_f32_e32 v0, v56, v62
	v_mul_f32_e32 v1, v55, v62
	v_fmac_f32_e32 v0, v55, v61
	v_fma_f32 v1, v56, v61, -v1
	s_waitcnt vmcnt(3)
	v_mul_f32_e32 v2, v58, v67
	v_mul_f32_e32 v3, v57, v67
	v_fmac_f32_e32 v2, v57, v66
	v_fma_f32 v3, v58, v66, -v3
	ds_write2_b64 v4, v[0:1], v[2:3] offset0:134 offset1:164
	s_waitcnt vmcnt(2)
	v_mul_f32_e32 v0, v65, v69
	v_mul_f32_e32 v1, v64, v69
	v_fmac_f32_e32 v0, v64, v68
	v_fma_f32 v1, v65, v68, -v1
	s_waitcnt vmcnt(0)
	v_mul_f32_e32 v2, v60, v71
	v_mul_f32_e32 v3, v59, v71
	v_fmac_f32_e32 v2, v59, v70
	v_fma_f32 v3, v60, v70, -v3
	ds_write2_b64 v4, v[0:1], v[2:3] offset0:194 offset1:224
.LBB0_3:
	s_or_b64 exec, exec, s[14:15]
	v_mov_b32_e32 v8, 0
	v_mov_b32_e32 v9, 0
	s_waitcnt lgkmcnt(0)
	s_barrier
	s_waitcnt lgkmcnt(0)
                                        ; implicit-def: $vgpr26
                                        ; implicit-def: $vgpr14
                                        ; implicit-def: $vgpr18
                                        ; implicit-def: $vgpr22
                                        ; implicit-def: $vgpr0
                                        ; implicit-def: $vgpr30
                                        ; implicit-def: $vgpr34
                                        ; implicit-def: $vgpr38
	s_and_saveexec_b64 s[2:3], s[0:1]
	s_cbranch_execz .LBB0_5
; %bb.4:
	v_lshl_add_u32 v0, v40, 3, v104
	v_add_u32_e32 v1, 0x400, v0
	ds_read2_b64 v[8:11], v0 offset1:30
	ds_read2_b64 v[36:39], v0 offset0:60 offset1:90
	ds_read2_b64 v[32:35], v0 offset0:120 offset1:150
	;; [unrolled: 1-line block ×4, first 2 shown]
	v_add_u32_e32 v1, 0x800, v0
	ds_read2_b64 v[12:15], v1 offset0:44 offset1:74
	ds_read2_b64 v[16:19], v1 offset0:104 offset1:134
	;; [unrolled: 1-line block ×3, first 2 shown]
	ds_read_b64 v[0:1], v0 offset:3840
.LBB0_5:
	s_or_b64 exec, exec, s[2:3]
	s_waitcnt lgkmcnt(0)
	v_sub_f32_e32 v81, v11, v1
	v_mul_f32_e32 v52, 0xbeb8f4ab, v81
	v_sub_f32_e32 v88, v37, v23
	v_add_f32_e32 v41, v0, v10
	v_sub_f32_e32 v90, v10, v0
	v_mov_b32_e32 v2, v52
	v_mul_f32_e32 v58, 0xbf2c7751, v88
	s_load_dwordx2 s[8:9], s[4:5], 0x20
	s_load_dwordx2 s[14:15], s[4:5], 0x8
	v_add_f32_e32 v42, v1, v11
	s_mov_b32 s4, 0x3f6eb680
	v_mul_f32_e32 v56, 0xbeb8f4ab, v90
	v_fmac_f32_e32 v2, 0x3f6eb680, v41
	v_add_f32_e32 v43, v22, v36
	v_sub_f32_e32 v98, v36, v22
	v_mov_b32_e32 v45, v58
	v_add_f32_e32 v2, v2, v8
	v_fma_f32 v3, v42, s4, -v56
	s_mov_b32 s5, 0x3f3d2fb0
	v_mul_f32_e32 v62, 0xbf2c7751, v81
	v_add_f32_e32 v44, v23, v37
	v_mul_f32_e32 v61, 0xbf2c7751, v98
	v_fmac_f32_e32 v45, 0x3f3d2fb0, v43
	v_add_f32_e32 v3, v3, v9
	v_mov_b32_e32 v4, v62
	v_add_f32_e32 v2, v45, v2
	v_fma_f32 v45, v44, s5, -v61
	v_mul_f32_e32 v66, 0xbf7ee86f, v88
	v_mul_f32_e32 v65, 0xbf2c7751, v90
	v_fmac_f32_e32 v4, 0x3f3d2fb0, v41
	v_add_f32_e32 v3, v45, v3
	v_mov_b32_e32 v45, v66
	v_add_f32_e32 v4, v4, v8
	v_fma_f32 v5, v42, s5, -v65
	v_mul_f32_e32 v71, 0xbf65296c, v81
	s_mov_b32 s16, 0x3dbcf732
	v_mul_f32_e32 v70, 0xbf7ee86f, v98
	v_fmac_f32_e32 v45, 0x3dbcf732, v43
	v_add_f32_e32 v5, v5, v9
	v_mov_b32_e32 v6, v71
	v_add_f32_e32 v4, v45, v4
	v_fma_f32 v45, v44, s16, -v70
	v_mul_f32_e32 v78, 0xbf4c4adb, v88
	s_mov_b32 s10, 0x3ee437d1
	v_mul_f32_e32 v77, 0xbf65296c, v90
	v_fmac_f32_e32 v6, 0x3ee437d1, v41
	v_add_f32_e32 v5, v45, v5
	v_mov_b32_e32 v45, v78
	v_add_f32_e32 v6, v6, v8
	v_fma_f32 v7, v42, s10, -v77
	s_mov_b32 s11, 0xbf1a4643
	v_mul_f32_e32 v85, 0xbf4c4adb, v98
	v_fmac_f32_e32 v45, 0xbf1a4643, v43
	v_sub_f32_e32 v96, v39, v21
	v_add_f32_e32 v7, v7, v9
	v_add_f32_e32 v6, v45, v6
	v_fma_f32 v45, v44, s11, -v85
	v_mul_f32_e32 v60, 0xbf65296c, v96
	v_add_f32_e32 v7, v45, v7
	v_add_f32_e32 v45, v20, v38
	v_sub_f32_e32 v107, v38, v20
	v_mov_b32_e32 v47, v60
	v_add_f32_e32 v46, v21, v39
	v_mul_f32_e32 v64, 0xbf65296c, v107
	v_fmac_f32_e32 v47, 0x3ee437d1, v45
	v_add_f32_e32 v2, v47, v2
	v_fma_f32 v47, v46, s10, -v64
	v_mul_f32_e32 v69, 0xbf4c4adb, v96
	v_add_f32_e32 v3, v47, v3
	v_mov_b32_e32 v47, v69
	v_mul_f32_e32 v75, 0xbf4c4adb, v107
	v_fmac_f32_e32 v47, 0xbf1a4643, v45
	v_add_f32_e32 v4, v47, v4
	v_fma_f32 v47, v46, s11, -v75
	v_mul_f32_e32 v84, 0x3e3c28d5, v96
	v_add_f32_e32 v5, v47, v5
	v_mov_b32_e32 v47, v84
	s_mov_b32 s17, 0xbf7ba420
	v_mul_f32_e32 v93, 0x3e3c28d5, v107
	v_fmac_f32_e32 v47, 0xbf7ba420, v45
	v_sub_f32_e32 v102, v33, v19
	v_add_f32_e32 v6, v47, v6
	v_fma_f32 v47, v46, s17, -v93
	v_mul_f32_e32 v63, 0xbf7ee86f, v102
	v_add_f32_e32 v7, v47, v7
	v_add_f32_e32 v47, v18, v32
	v_sub_f32_e32 v112, v32, v18
	v_mov_b32_e32 v49, v63
	v_add_f32_e32 v48, v19, v33
	v_mul_f32_e32 v68, 0xbf7ee86f, v112
	v_fmac_f32_e32 v49, 0x3dbcf732, v47
	v_add_f32_e32 v2, v49, v2
	v_fma_f32 v49, v48, s16, -v68
	v_mul_f32_e32 v74, 0xbe3c28d5, v102
	v_add_f32_e32 v3, v49, v3
	v_mov_b32_e32 v49, v74
	v_mul_f32_e32 v82, 0xbe3c28d5, v112
	v_fmac_f32_e32 v49, 0xbf7ba420, v47
	v_add_f32_e32 v4, v49, v4
	v_fma_f32 v49, v48, s17, -v82
	v_mul_f32_e32 v92, 0x3f763a35, v102
	v_add_f32_e32 v5, v49, v5
	v_mov_b32_e32 v49, v92
	s_mov_b32 s18, 0xbe8c1d8e
	v_mul_f32_e32 v100, 0x3f763a35, v112
	v_fmac_f32_e32 v49, 0xbe8c1d8e, v47
	v_sub_f32_e32 v111, v35, v17
	v_add_f32_e32 v6, v49, v6
	v_fma_f32 v49, v48, s18, -v100
	v_mul_f32_e32 v67, 0xbf763a35, v111
	v_add_f32_e32 v7, v49, v7
	v_add_f32_e32 v49, v16, v34
	v_sub_f32_e32 v115, v34, v16
	v_mov_b32_e32 v51, v67
	v_add_f32_e32 v50, v17, v35
	v_mul_f32_e32 v73, 0xbf763a35, v115
	v_fmac_f32_e32 v51, 0xbe8c1d8e, v49
	v_add_f32_e32 v2, v51, v2
	v_fma_f32 v51, v50, s18, -v73
	v_mul_f32_e32 v83, 0x3f06c442, v111
	v_add_f32_e32 v3, v51, v3
	v_mov_b32_e32 v51, v83
	s_mov_b32 s19, 0xbf59a7d5
	v_mul_f32_e32 v91, 0x3f06c442, v115
	v_fmac_f32_e32 v51, 0xbf59a7d5, v49
	v_add_f32_e32 v4, v51, v4
	v_fma_f32 v51, v50, s19, -v91
	v_mul_f32_e32 v99, 0x3f2c7751, v111
	v_add_f32_e32 v5, v51, v5
	v_mov_b32_e32 v51, v99
	v_mul_f32_e32 v109, 0x3f2c7751, v115
	v_fmac_f32_e32 v51, 0x3f3d2fb0, v49
	v_sub_f32_e32 v116, v29, v15
	v_add_f32_e32 v6, v51, v6
	v_fma_f32 v51, v50, s5, -v109
	v_mul_f32_e32 v72, 0xbf4c4adb, v116
	v_add_f32_e32 v7, v51, v7
	v_add_f32_e32 v51, v14, v28
	v_sub_f32_e32 v119, v28, v14
	v_mov_b32_e32 v53, v72
	v_add_f32_e32 v54, v15, v29
	v_mul_f32_e32 v80, 0xbf4c4adb, v119
	v_fmac_f32_e32 v53, 0xbf1a4643, v51
	v_add_f32_e32 v2, v53, v2
	v_fma_f32 v53, v54, s11, -v80
	v_mul_f32_e32 v89, 0x3f763a35, v116
	v_add_f32_e32 v3, v53, v3
	v_mov_b32_e32 v53, v89
	v_mul_f32_e32 v97, 0x3f763a35, v119
	v_fmac_f32_e32 v53, 0xbe8c1d8e, v51
	v_add_f32_e32 v4, v53, v4
	v_fma_f32 v53, v54, s18, -v97
	v_mul_f32_e32 v108, 0xbeb8f4ab, v116
	v_add_f32_e32 v5, v53, v5
	v_mov_b32_e32 v53, v108
	v_mul_f32_e32 v114, 0xbeb8f4ab, v119
	v_fmac_f32_e32 v53, 0x3f6eb680, v51
	v_sub_f32_e32 v120, v31, v13
	v_add_f32_e32 v6, v53, v6
	v_fma_f32 v53, v54, s4, -v114
	v_mul_f32_e32 v79, 0xbf06c442, v120
	v_add_f32_e32 v7, v53, v7
	v_add_f32_e32 v53, v12, v30
	v_sub_f32_e32 v123, v30, v12
	v_mov_b32_e32 v55, v79
	v_add_f32_e32 v57, v13, v31
	v_mul_f32_e32 v87, 0xbf06c442, v123
	v_fmac_f32_e32 v55, 0xbf59a7d5, v53
	v_add_f32_e32 v2, v55, v2
	v_fma_f32 v55, v57, s19, -v87
	v_mul_f32_e32 v95, 0x3f65296c, v120
	v_add_f32_e32 v3, v55, v3
	v_mov_b32_e32 v55, v95
	;; [unrolled: 25-line block ×3, first 2 shown]
	v_mul_f32_e32 v110, 0x3eb8f4ab, v124
	v_fmac_f32_e32 v6, 0x3f6eb680, v55
	v_add_f32_e32 v6, v6, v4
	v_fma_f32 v4, v59, s4, -v110
	v_mul_f32_e32 v117, 0xbf06c442, v122
	v_add_f32_e32 v7, v4, v5
	v_mov_b32_e32 v4, v117
	v_fmac_f32_e32 v4, 0xbf59a7d5, v55
	v_add_f32_e32 v4, v4, v121
	v_mul_f32_e32 v121, 0xbf06c442, v124
	v_fma_f32 v5, v59, s19, -v121
	v_add_f32_e32 v5, v5, v125
	s_waitcnt lgkmcnt(0)
	s_barrier
	s_and_saveexec_b64 s[2:3], s[0:1]
	s_cbranch_execz .LBB0_7
; %bb.6:
	v_add_f32_e32 v10, v10, v8
	v_add_f32_e32 v11, v11, v9
	;; [unrolled: 1-line block ×11, first 2 shown]
	v_mul_f32_e32 v32, 0xbe8c1d8e, v42
	v_add_f32_e32 v11, v29, v11
	v_add_f32_e32 v10, v30, v10
	v_mov_b32_e32 v28, v32
	v_mul_f32_e32 v33, 0xbf59a7d5, v44
	v_add_f32_e32 v11, v31, v11
	v_fmac_f32_e32 v28, 0x3f763a35, v90
	v_mov_b32_e32 v29, v33
	v_add_f32_e32 v10, v24, v10
	v_mul_f32_e32 v34, 0x3f3d2fb0, v46
	v_add_f32_e32 v28, v28, v9
	v_fmac_f32_e32 v29, 0xbf06c442, v98
	v_add_f32_e32 v11, v25, v11
	v_add_f32_e32 v126, v26, v10
	v_mov_b32_e32 v10, v34
	v_mul_f32_e32 v35, 0x3ee437d1, v48
	v_add_f32_e32 v28, v29, v28
	v_add_f32_e32 v125, v27, v11
	v_fmac_f32_e32 v10, 0xbf2c7751, v107
	v_mov_b32_e32 v11, v35
	v_add_f32_e32 v10, v10, v28
	v_fmac_f32_e32 v11, 0x3f65296c, v112
	v_mul_f32_e32 v36, 0xbf7ba420, v50
	v_add_f32_e32 v10, v11, v10
	v_mov_b32_e32 v11, v36
	v_fmac_f32_e32 v11, 0x3e3c28d5, v115
	v_mul_f32_e32 v37, 0x3dbcf732, v54
	v_add_f32_e32 v10, v11, v10
	v_mov_b32_e32 v11, v37
	;; [unrolled: 4-line block ×4, first 2 shown]
	v_mul_f32_e32 v127, 0x3f06c442, v88
	v_fmac_f32_e32 v11, 0xbe8c1d8e, v41
	v_mov_b32_e32 v24, v127
	v_add_f32_e32 v11, v11, v8
	v_fmac_f32_e32 v24, 0xbf59a7d5, v43
	v_mul_f32_e32 v128, 0x3f2c7751, v96
	v_add_f32_e32 v11, v24, v11
	v_mov_b32_e32 v24, v128
	v_fmac_f32_e32 v24, 0x3f3d2fb0, v45
	v_mul_f32_e32 v129, 0xbf65296c, v102
	v_add_f32_e32 v11, v24, v11
	v_mov_b32_e32 v24, v129
	;; [unrolled: 4-line block ×8, first 2 shown]
	v_mul_f32_e32 v29, 0x3ee437d1, v44
	v_fmac_f32_e32 v24, 0x3f06c442, v90
	v_mov_b32_e32 v25, v29
	v_add_f32_e32 v24, v24, v9
	v_fmac_f32_e32 v25, 0xbf65296c, v98
	v_mul_f32_e32 v30, 0x3dbcf732, v46
	v_add_f32_e32 v24, v25, v24
	v_mov_b32_e32 v25, v30
	v_fmac_f32_e32 v25, 0x3f7ee86f, v107
	v_mul_f32_e32 v31, 0xbf1a4643, v48
	v_add_f32_e32 v24, v25, v24
	v_mov_b32_e32 v25, v31
	v_fmac_f32_e32 v25, 0xbf4c4adb, v112
	v_mul_f32_e32 v135, 0x3f6eb680, v50
	v_add_f32_e32 v24, v25, v24
	v_mov_b32_e32 v25, v135
	v_fmac_f32_e32 v25, 0x3eb8f4ab, v115
	v_mul_f32_e32 v136, 0xbf7ba420, v54
	v_add_f32_e32 v24, v25, v24
	v_mov_b32_e32 v25, v136
	v_fmac_f32_e32 v25, 0x3e3c28d5, v119
	v_mul_f32_e32 v137, 0x3f3d2fb0, v57
	v_add_f32_e32 v24, v25, v24
	v_mov_b32_e32 v25, v137
	v_fmac_f32_e32 v25, 0xbf2c7751, v123
	v_mul_f32_e32 v138, 0xbf06c442, v81
	v_add_f32_e32 v24, v25, v24
	v_mov_b32_e32 v25, v138
	v_mul_f32_e32 v139, 0x3f65296c, v88
	v_fmac_f32_e32 v25, 0xbf59a7d5, v41
	v_mov_b32_e32 v26, v139
	v_add_f32_e32 v25, v25, v8
	v_fmac_f32_e32 v26, 0x3ee437d1, v43
	v_mul_f32_e32 v140, 0xbf7ee86f, v96
	v_add_f32_e32 v25, v26, v25
	v_mov_b32_e32 v26, v140
	v_fmac_f32_e32 v26, 0x3dbcf732, v45
	v_mul_f32_e32 v141, 0x3f4c4adb, v102
	v_add_f32_e32 v25, v26, v25
	v_mov_b32_e32 v26, v141
	;; [unrolled: 4-line block ×7, first 2 shown]
	v_fmac_f32_e32 v28, 0xbf06c442, v90
	v_fmac_f32_e32 v24, 0xbe8c1d8e, v55
	v_mul_f32_e32 v147, 0xbe3c28d5, v90
	v_add_f32_e32 v28, v28, v9
	v_fmac_f32_e32 v29, 0x3f65296c, v98
	v_add_f32_e32 v24, v24, v26
	v_mov_b32_e32 v26, v147
	v_mul_f32_e32 v148, 0x3eb8f4ab, v98
	v_add_f32_e32 v28, v29, v28
	v_fmac_f32_e32 v30, 0xbf7ee86f, v107
	v_fma_f32 v29, v41, s19, -v138
	v_fmac_f32_e32 v26, 0xbf7ba420, v42
	v_mov_b32_e32 v27, v148
	v_add_f32_e32 v28, v30, v28
	v_add_f32_e32 v29, v29, v8
	v_fma_f32 v30, v43, s10, -v139
	v_add_f32_e32 v26, v26, v9
	v_fmac_f32_e32 v27, 0x3f6eb680, v44
	v_mul_f32_e32 v149, 0xbf06c442, v107
	v_fmac_f32_e32 v31, 0x3f4c4adb, v112
	v_add_f32_e32 v29, v30, v29
	v_fma_f32 v30, v45, s16, -v140
	v_add_f32_e32 v26, v27, v26
	v_mov_b32_e32 v27, v149
	v_add_f32_e32 v28, v31, v28
	v_fmac_f32_e32 v135, 0xbeb8f4ab, v115
	v_add_f32_e32 v29, v30, v29
	v_fma_f32 v30, v47, s11, -v141
	v_fmac_f32_e32 v32, 0xbf763a35, v90
	v_fmac_f32_e32 v27, 0xbf59a7d5, v46
	v_mul_f32_e32 v150, 0x3f2c7751, v112
	v_add_f32_e32 v28, v135, v28
	v_fmac_f32_e32 v136, 0xbe3c28d5, v119
	v_add_f32_e32 v29, v30, v29
	v_fma_f32 v30, v49, s4, -v142
	v_add_f32_e32 v32, v32, v9
	v_fmac_f32_e32 v33, 0x3f06c442, v98
	v_add_f32_e32 v26, v27, v26
	v_mov_b32_e32 v27, v150
	v_add_f32_e32 v28, v136, v28
	v_fmac_f32_e32 v137, 0x3f2c7751, v123
	v_add_f32_e32 v29, v30, v29
	v_fma_f32 v30, v51, s17, -v143
	v_add_f32_e32 v32, v33, v32
	v_fmac_f32_e32 v34, 0x3f2c7751, v107
	v_fma_f32 v33, v41, s18, -v39
	v_fmac_f32_e32 v27, 0x3f3d2fb0, v48
	v_mul_f32_e32 v151, 0xbf4c4adb, v115
	v_add_f32_e32 v28, v137, v28
	v_add_f32_e32 v29, v30, v29
	v_fma_f32 v30, v53, s5, -v144
	v_fmac_f32_e32 v145, 0xbf763a35, v124
	v_add_f32_e32 v32, v34, v32
	v_add_f32_e32 v33, v33, v8
	v_fma_f32 v34, v43, s19, -v127
	v_add_f32_e32 v26, v27, v26
	v_mov_b32_e32 v27, v151
	v_add_f32_e32 v30, v30, v29
	v_add_f32_e32 v29, v145, v28
	v_fma_f32 v28, v55, s18, -v146
	v_mul_f32_e32 v135, 0xbf4c4adb, v90
	v_fmac_f32_e32 v35, 0xbf65296c, v112
	v_add_f32_e32 v33, v34, v33
	v_fma_f32 v34, v45, s5, -v128
	v_fmac_f32_e32 v27, 0xbf1a4643, v50
	v_mul_f32_e32 v152, 0x3f65296c, v119
	v_add_f32_e32 v28, v28, v30
	v_mov_b32_e32 v30, v135
	v_mul_f32_e32 v136, 0x3f763a35, v98
	v_add_f32_e32 v32, v35, v32
	v_fmac_f32_e32 v36, 0xbe3c28d5, v115
	v_add_f32_e32 v33, v34, v33
	v_fma_f32 v34, v47, s10, -v129
	v_add_f32_e32 v26, v27, v26
	v_mov_b32_e32 v27, v152
	v_fmac_f32_e32 v30, 0xbf1a4643, v42
	v_mov_b32_e32 v31, v136
	v_add_f32_e32 v32, v36, v32
	v_fmac_f32_e32 v37, 0x3f7ee86f, v119
	v_add_f32_e32 v33, v34, v33
	v_fma_f32 v34, v49, s17, -v130
	v_fmac_f32_e32 v27, 0x3ee437d1, v54
	v_mul_f32_e32 v153, 0xbf763a35, v123
	v_add_f32_e32 v30, v30, v9
	v_fmac_f32_e32 v31, 0xbe8c1d8e, v44
	v_mul_f32_e32 v137, 0xbeb8f4ab, v107
	v_add_f32_e32 v32, v37, v32
	v_fmac_f32_e32 v38, 0xbeb8f4ab, v123
	v_add_f32_e32 v33, v34, v33
	v_fma_f32 v34, v51, s16, -v131
	v_add_f32_e32 v26, v27, v26
	v_mov_b32_e32 v27, v153
	v_add_f32_e32 v30, v31, v30
	v_mov_b32_e32 v31, v137
	v_add_f32_e32 v32, v38, v32
	v_add_f32_e32 v33, v34, v33
	v_fma_f32 v34, v53, s4, -v132
	v_fmac_f32_e32 v133, 0xbf4c4adb, v124
	v_fmac_f32_e32 v27, 0xbe8c1d8e, v57
	v_mul_f32_e32 v154, 0xbe3c28d5, v81
	v_fmac_f32_e32 v31, 0x3f6eb680, v46
	v_mul_f32_e32 v138, 0xbf06c442, v112
	v_add_f32_e32 v34, v34, v33
	v_add_f32_e32 v33, v133, v32
	v_fma_f32 v32, v55, s11, -v134
	v_mul_f32_e32 v90, 0xbf7ee86f, v90
	v_add_f32_e32 v26, v27, v26
	v_fma_f32 v27, v41, s17, -v154
	v_mul_f32_e32 v155, 0x3eb8f4ab, v88
	v_add_f32_e32 v30, v31, v30
	v_mov_b32_e32 v31, v138
	v_add_f32_e32 v32, v32, v34
	v_mov_b32_e32 v34, v90
	v_mul_f32_e32 v98, 0xbe3c28d5, v98
	v_add_f32_e32 v27, v27, v8
	v_fma_f32 v156, v43, s4, -v155
	v_fmac_f32_e32 v31, 0xbf59a7d5, v48
	v_mul_f32_e32 v139, 0x3f7ee86f, v115
	v_fmac_f32_e32 v34, 0x3dbcf732, v42
	v_mov_b32_e32 v35, v98
	v_add_f32_e32 v27, v156, v27
	v_mul_f32_e32 v156, 0xbf06c442, v96
	v_add_f32_e32 v30, v31, v30
	v_mov_b32_e32 v31, v139
	v_add_f32_e32 v34, v34, v9
	v_fmac_f32_e32 v35, 0xbf7ba420, v44
	v_mul_f32_e32 v107, 0x3f763a35, v107
	v_fma_f32 v157, v45, s19, -v156
	v_fmac_f32_e32 v31, 0x3dbcf732, v50
	v_mul_f32_e32 v140, 0xbf2c7751, v119
	v_add_f32_e32 v34, v35, v34
	v_mov_b32_e32 v35, v107
	v_add_f32_e32 v27, v157, v27
	v_mul_f32_e32 v157, 0x3f2c7751, v102
	v_add_f32_e32 v30, v31, v30
	v_mov_b32_e32 v31, v140
	v_fmac_f32_e32 v35, 0xbe8c1d8e, v46
	v_mul_f32_e32 v112, 0x3eb8f4ab, v112
	v_fma_f32 v158, v47, s5, -v157
	v_fmac_f32_e32 v31, 0x3f3d2fb0, v54
	v_mul_f32_e32 v141, 0xbe3c28d5, v123
	v_add_f32_e32 v34, v35, v34
	v_mov_b32_e32 v35, v112
	v_add_f32_e32 v27, v158, v27
	v_mul_f32_e32 v158, 0xbf4c4adb, v111
	v_add_f32_e32 v30, v31, v30
	v_mov_b32_e32 v31, v141
	v_fmac_f32_e32 v35, 0x3f6eb680, v48
	v_mul_f32_e32 v115, 0xbf65296c, v115
	v_fma_f32 v159, v49, s11, -v158
	v_fmac_f32_e32 v31, 0xbf7ba420, v57
	v_mul_f32_e32 v142, 0xbf4c4adb, v81
	v_add_f32_e32 v34, v35, v34
	v_mov_b32_e32 v35, v115
	v_add_f32_e32 v27, v159, v27
	v_mul_f32_e32 v159, 0x3f65296c, v116
	v_add_f32_e32 v30, v31, v30
	v_fma_f32 v31, v41, s11, -v142
	v_mul_f32_e32 v143, 0x3f763a35, v88
	v_fmac_f32_e32 v35, 0x3ee437d1, v50
	v_mul_f32_e32 v119, 0xbf06c442, v119
	v_fma_f32 v160, v51, s10, -v159
	v_add_f32_e32 v31, v31, v8
	v_fma_f32 v144, v43, s18, -v143
	v_add_f32_e32 v34, v35, v34
	v_mov_b32_e32 v35, v119
	v_add_f32_e32 v27, v160, v27
	v_mul_f32_e32 v160, 0xbf763a35, v120
	v_add_f32_e32 v31, v144, v31
	v_mul_f32_e32 v144, 0xbeb8f4ab, v96
	v_fmac_f32_e32 v35, 0xbf59a7d5, v54
	v_mul_f32_e32 v123, 0x3f4c4adb, v123
	v_fma_f32 v161, v53, s18, -v160
	v_mul_f32_e32 v162, 0x3f7ee86f, v124
	v_fma_f32 v145, v45, s4, -v144
	v_add_f32_e32 v34, v35, v34
	v_mov_b32_e32 v35, v123
	v_add_f32_e32 v161, v161, v27
	v_mov_b32_e32 v27, v162
	v_add_f32_e32 v31, v145, v31
	v_mul_f32_e32 v145, 0xbf06c442, v102
	v_fmac_f32_e32 v35, 0xbf1a4643, v57
	v_mul_f32_e32 v81, 0xbf7ee86f, v81
	v_fmac_f32_e32 v27, 0x3dbcf732, v59
	v_mul_f32_e32 v163, 0x3f7ee86f, v122
	v_fma_f32 v146, v47, s19, -v145
	v_add_f32_e32 v34, v35, v34
	v_fma_f32 v35, v41, s16, -v81
	v_mul_f32_e32 v88, 0xbe3c28d5, v88
	v_add_f32_e32 v27, v27, v26
	v_fma_f32 v26, v55, s16, -v163
	v_add_f32_e32 v31, v146, v31
	v_mul_f32_e32 v146, 0x3f7ee86f, v111
	v_add_f32_e32 v35, v35, v8
	v_fma_f32 v36, v43, s17, -v88
	v_mul_f32_e32 v96, 0x3f763a35, v96
	v_add_f32_e32 v26, v26, v161
	v_fma_f32 v161, v49, s16, -v146
	v_add_f32_e32 v35, v36, v35
	v_fma_f32 v36, v45, s18, -v96
	v_mul_f32_e32 v102, 0x3eb8f4ab, v102
	v_add_f32_e32 v31, v161, v31
	v_mul_f32_e32 v161, 0xbf2c7751, v116
	v_add_f32_e32 v35, v36, v35
	v_fma_f32 v36, v47, s4, -v102
	v_mul_f32_e32 v111, 0xbf65296c, v111
	v_fma_f32 v164, v51, s5, -v161
	v_add_f32_e32 v35, v36, v35
	v_fma_f32 v36, v49, s10, -v111
	v_mul_f32_e32 v116, 0xbf06c442, v116
	v_add_f32_e32 v31, v164, v31
	v_mul_f32_e32 v164, 0xbe3c28d5, v120
	v_add_f32_e32 v35, v36, v35
	v_fma_f32 v36, v51, s19, -v116
	v_mul_f32_e32 v120, 0x3f4c4adb, v120
	v_mul_f32_e32 v166, 0x3f65296c, v124
	v_add_f32_e32 v35, v36, v35
	v_fma_f32 v36, v53, s11, -v120
	v_mul_f32_e32 v124, 0x3f2c7751, v124
	v_add_f32_e32 v36, v36, v35
	v_mov_b32_e32 v35, v124
	v_mul_f32_e32 v167, 0x3f65296c, v122
	v_fmac_f32_e32 v35, 0x3f3d2fb0, v59
	v_mul_f32_e32 v122, 0x3f2c7751, v122
	v_add_f32_e32 v35, v35, v34
	v_fma_f32 v34, v55, s5, -v122
	v_add_f32_e32 v34, v34, v36
	v_mul_f32_e32 v36, 0x3ee437d1, v42
	v_mul_f32_e32 v38, 0x3ee437d1, v41
	v_add_f32_e32 v36, v77, v36
	v_mul_f32_e32 v37, 0xbf1a4643, v44
	v_sub_f32_e32 v38, v38, v71
	v_mul_f32_e32 v39, 0xbf1a4643, v43
	v_add_f32_e32 v37, v85, v37
	v_add_f32_e32 v36, v36, v9
	v_sub_f32_e32 v39, v39, v78
	v_add_f32_e32 v38, v38, v8
	v_add_f32_e32 v36, v37, v36
	v_mul_f32_e32 v37, 0xbf7ba420, v46
	v_add_f32_e32 v38, v39, v38
	v_mul_f32_e32 v39, 0xbf7ba420, v45
	v_add_f32_e32 v37, v93, v37
	v_sub_f32_e32 v39, v39, v84
	v_add_f32_e32 v36, v37, v36
	v_mul_f32_e32 v37, 0xbe8c1d8e, v48
	v_add_f32_e32 v38, v39, v38
	v_mul_f32_e32 v39, 0xbe8c1d8e, v47
	v_add_f32_e32 v37, v100, v37
	v_sub_f32_e32 v39, v39, v92
	;; [unrolled: 6-line block ×6, first 2 shown]
	v_add_f32_e32 v37, v37, v36
	v_add_f32_e32 v36, v39, v38
	v_mul_f32_e32 v38, 0x3f3d2fb0, v42
	v_add_f32_e32 v38, v65, v38
	v_mul_f32_e32 v65, 0x3f3d2fb0, v41
	v_mul_f32_e32 v39, 0x3dbcf732, v44
	v_sub_f32_e32 v62, v65, v62
	v_mul_f32_e32 v65, 0x3dbcf732, v43
	v_add_f32_e32 v39, v70, v39
	v_add_f32_e32 v38, v38, v9
	v_sub_f32_e32 v65, v65, v66
	v_add_f32_e32 v62, v62, v8
	v_add_f32_e32 v38, v39, v38
	v_mul_f32_e32 v39, 0xbf1a4643, v46
	v_add_f32_e32 v62, v65, v62
	v_mul_f32_e32 v65, 0xbf1a4643, v45
	v_add_f32_e32 v39, v75, v39
	v_sub_f32_e32 v65, v65, v69
	v_add_f32_e32 v38, v39, v38
	v_mul_f32_e32 v39, 0xbf7ba420, v48
	v_add_f32_e32 v62, v65, v62
	v_mul_f32_e32 v65, 0xbf7ba420, v47
	v_add_f32_e32 v39, v82, v39
	v_sub_f32_e32 v65, v65, v74
	;; [unrolled: 6-line block ×5, first 2 shown]
	v_add_f32_e32 v12, v12, v126
	v_add_f32_e32 v38, v39, v38
	v_mul_f32_e32 v39, 0x3f6eb680, v59
	v_add_f32_e32 v62, v65, v62
	v_mul_f32_e32 v65, 0x3f6eb680, v55
	v_add_f32_e32 v13, v13, v125
	v_add_f32_e32 v12, v14, v12
	;; [unrolled: 1-line block ×3, first 2 shown]
	v_sub_f32_e32 v65, v65, v101
	v_add_f32_e32 v13, v15, v13
	v_add_f32_e32 v12, v16, v12
	;; [unrolled: 1-line block ×4, first 2 shown]
	v_mul_f32_e32 v62, 0x3f6eb680, v42
	v_add_f32_e32 v13, v17, v13
	v_add_f32_e32 v12, v18, v12
	;; [unrolled: 1-line block ×3, first 2 shown]
	v_mul_f32_e32 v62, 0x3f3d2fb0, v44
	v_add_f32_e32 v13, v19, v13
	v_add_f32_e32 v12, v20, v12
	;; [unrolled: 1-line block ×3, first 2 shown]
	v_mul_f32_e32 v62, 0x3f6eb680, v41
	v_add_f32_e32 v13, v21, v13
	v_add_f32_e32 v12, v22, v12
	v_sub_f32_e32 v52, v62, v52
	v_mul_f32_e32 v62, 0x3f3d2fb0, v43
	v_add_f32_e32 v13, v23, v13
	v_add_f32_e32 v0, v0, v12
	v_fma_f32 v12, v42, s17, -v147
	v_fma_f32 v14, v42, s11, -v135
	v_add_f32_e32 v56, v56, v9
	v_sub_f32_e32 v58, v62, v58
	v_add_f32_e32 v52, v52, v8
	v_add_f32_e32 v1, v1, v13
	;; [unrolled: 1-line block ×3, first 2 shown]
	v_fma_f32 v13, v44, s4, -v148
	v_add_f32_e32 v14, v14, v9
	v_fma_f32 v15, v44, s18, -v136
	v_add_f32_e32 v56, v61, v56
	v_mul_f32_e32 v61, 0x3ee437d1, v46
	v_add_f32_e32 v52, v58, v52
	v_mul_f32_e32 v58, 0x3ee437d1, v45
	v_add_f32_e32 v12, v13, v12
	v_fma_f32 v13, v46, s19, -v149
	v_add_f32_e32 v14, v15, v14
	v_fma_f32 v15, v46, s4, -v137
	v_add_f32_e32 v61, v64, v61
	v_sub_f32_e32 v58, v58, v60
	v_add_f32_e32 v12, v13, v12
	v_fma_f32 v13, v48, s5, -v150
	v_add_f32_e32 v14, v15, v14
	v_fma_f32 v15, v48, s19, -v138
	v_add_f32_e32 v56, v61, v56
	v_mul_f32_e32 v61, 0x3dbcf732, v48
	v_add_f32_e32 v52, v58, v52
	v_mul_f32_e32 v58, 0x3dbcf732, v47
	v_add_f32_e32 v12, v13, v12
	v_fma_f32 v13, v50, s11, -v151
	v_add_f32_e32 v14, v15, v14
	v_fma_f32 v15, v50, s16, -v139
	v_add_f32_e32 v61, v68, v61
	v_sub_f32_e32 v58, v58, v63
	v_add_f32_e32 v12, v13, v12
	v_fma_f32 v13, v54, s10, -v152
	v_add_f32_e32 v14, v15, v14
	v_fma_f32 v15, v54, s5, -v140
	v_fma_f32 v16, v42, s16, -v90
	v_add_f32_e32 v56, v61, v56
	v_mul_f32_e32 v61, 0xbe8c1d8e, v50
	v_add_f32_e32 v52, v58, v52
	v_mul_f32_e32 v58, 0xbe8c1d8e, v49
	v_add_f32_e32 v12, v13, v12
	v_fma_f32 v13, v57, s18, -v153
	v_add_f32_e32 v14, v15, v14
	v_fma_f32 v15, v57, s17, -v141
	;; [unrolled: 2-line block ×3, first 2 shown]
	v_add_f32_e32 v61, v73, v61
	v_sub_f32_e32 v58, v58, v67
	v_add_f32_e32 v12, v13, v12
	v_fma_f32 v13, v59, s16, -v162
	v_fmac_f32_e32 v154, 0xbf7ba420, v41
	v_add_f32_e32 v14, v15, v14
	v_fma_f32 v15, v59, s10, -v166
	v_fmac_f32_e32 v142, 0xbf1a4643, v41
	;; [unrolled: 3-line block ×3, first 2 shown]
	v_add_f32_e32 v56, v61, v56
	v_mul_f32_e32 v61, 0xbf1a4643, v54
	v_add_f32_e32 v52, v58, v52
	v_mul_f32_e32 v58, 0xbf1a4643, v51
	v_add_f32_e32 v13, v13, v12
	v_add_f32_e32 v12, v154, v8
	v_fmac_f32_e32 v155, 0x3f6eb680, v43
	v_add_f32_e32 v15, v15, v14
	v_add_f32_e32 v14, v142, v8
	v_fmac_f32_e32 v143, 0xbe8c1d8e, v43
	v_add_f32_e32 v9, v16, v9
	v_fma_f32 v16, v48, s4, -v112
	v_add_f32_e32 v8, v81, v8
	v_fmac_f32_e32 v88, 0xbf7ba420, v43
	v_add_f32_e32 v61, v80, v61
	v_sub_f32_e32 v58, v58, v72
	v_add_f32_e32 v12, v155, v12
	v_fmac_f32_e32 v156, 0xbf59a7d5, v45
	v_add_f32_e32 v14, v143, v14
	v_fmac_f32_e32 v144, 0x3f6eb680, v45
	v_add_f32_e32 v9, v16, v9
	v_fma_f32 v16, v50, s10, -v115
	v_add_f32_e32 v8, v88, v8
	v_fmac_f32_e32 v96, 0xbe8c1d8e, v45
	v_add_f32_e32 v56, v61, v56
	v_mul_f32_e32 v61, 0xbf59a7d5, v57
	v_add_f32_e32 v52, v58, v52
	v_mul_f32_e32 v58, 0xbf59a7d5, v53
	v_add_f32_e32 v12, v156, v12
	v_fmac_f32_e32 v157, 0x3f3d2fb0, v47
	v_add_f32_e32 v14, v144, v14
	v_fmac_f32_e32 v145, 0xbf59a7d5, v47
	v_add_f32_e32 v9, v16, v9
	v_fma_f32 v16, v54, s19, -v119
	v_add_f32_e32 v8, v96, v8
	v_fmac_f32_e32 v102, 0x3f6eb680, v47
	v_fma_f32 v165, v53, s17, -v164
	v_add_f32_e32 v61, v87, v61
	v_sub_f32_e32 v58, v58, v79
	v_add_f32_e32 v12, v157, v12
	v_fmac_f32_e32 v158, 0xbf1a4643, v49
	v_add_f32_e32 v14, v145, v14
	v_fmac_f32_e32 v146, 0x3dbcf732, v49
	v_add_f32_e32 v9, v16, v9
	v_fma_f32 v16, v57, s11, -v123
	v_add_f32_e32 v8, v102, v8
	v_fmac_f32_e32 v111, 0x3ee437d1, v49
	v_add_f32_e32 v165, v165, v31
	v_mov_b32_e32 v31, v166
	v_add_f32_e32 v56, v61, v56
	v_mul_f32_e32 v61, 0xbf7ba420, v59
	v_add_f32_e32 v52, v58, v52
	v_mul_f32_e32 v58, 0xbf7ba420, v55
	v_add_f32_e32 v12, v158, v12
	v_fmac_f32_e32 v159, 0x3ee437d1, v51
	v_add_f32_e32 v14, v146, v14
	v_fmac_f32_e32 v161, 0x3f3d2fb0, v51
	v_add_f32_e32 v9, v16, v9
	v_fma_f32 v16, v59, s5, -v124
	v_add_f32_e32 v8, v111, v8
	v_fmac_f32_e32 v116, 0xbf59a7d5, v51
	v_fmac_f32_e32 v31, 0x3ee437d1, v59
	v_add_f32_e32 v61, v94, v61
	v_sub_f32_e32 v58, v58, v86
	v_add_f32_e32 v12, v159, v12
	v_fmac_f32_e32 v160, 0xbe8c1d8e, v53
	v_add_f32_e32 v14, v161, v14
	v_fmac_f32_e32 v164, 0xbf7ba420, v53
	v_add_f32_e32 v9, v16, v9
	v_add_f32_e32 v8, v116, v8
	v_fmac_f32_e32 v120, 0xbf1a4643, v53
	v_mul_lo_u16_e32 v16, 17, v103
	v_add_f32_e32 v31, v31, v30
	v_fma_f32 v30, v55, s10, -v167
	v_add_f32_e32 v61, v61, v56
	v_add_f32_e32 v60, v58, v52
	;; [unrolled: 1-line block ×3, first 2 shown]
	v_fmac_f32_e32 v163, 0x3dbcf732, v55
	v_add_f32_e32 v14, v164, v14
	v_fmac_f32_e32 v167, 0x3ee437d1, v55
	v_add_f32_e32 v8, v120, v8
	v_fmac_f32_e32 v122, 0x3f3d2fb0, v55
	v_add_lshl_u32 v16, v40, v16, 3
	v_add_f32_e32 v30, v30, v165
	v_add_f32_e32 v12, v163, v12
	;; [unrolled: 1-line block ×4, first 2 shown]
	ds_write2_b64 v16, v[0:1], v[60:61] offset1:1
	ds_write2_b64 v16, v[38:39], v[36:37] offset0:2 offset1:3
	ds_write2_b64 v16, v[34:35], v[32:33] offset0:4 offset1:5
	ds_write2_b64 v16, v[30:31], v[28:29] offset0:6 offset1:7
	ds_write2_b64 v16, v[26:27], v[12:13] offset0:8 offset1:9
	ds_write2_b64 v16, v[24:25], v[14:15] offset0:10 offset1:11
	ds_write2_b64 v16, v[10:11], v[8:9] offset0:12 offset1:13
	ds_write2_b64 v16, v[4:5], v[6:7] offset0:14 offset1:15
	ds_write_b64 v16, v[2:3] offset:128
.LBB0_7:
	s_or_b64 exec, exec, s[2:3]
	v_add_lshl_u32 v106, v40, v103, 3
	v_add_u32_e32 v0, 0x800, v106
	s_waitcnt lgkmcnt(0)
	s_barrier
	ds_read2_b64 v[12:15], v106 offset1:34
	ds_read2_b64 v[8:11], v106 offset0:204 offset1:255
	ds_read2_b64 v[28:31], v0 offset0:33 offset1:67
	;; [unrolled: 1-line block ×6, first 2 shown]
	v_cmp_gt_u16_e64 s[2:3], 17, v103
	s_and_saveexec_b64 s[4:5], s[2:3]
	s_cbranch_execz .LBB0_9
; %bb.8:
	v_add_u32_e32 v0, 0x770, v106
	ds_read2_b64 v[4:7], v0 offset1:255
.LBB0_9:
	s_or_b64 exec, exec, s[4:5]
	v_add_co_u32_e32 v38, vcc, 34, v103
	v_addc_co_u32_e64 v39, s[4:5], 0, 0, vcc
	v_add_co_u32_e32 v36, vcc, 0x44, v103
	s_mov_b64 s[4:5], vcc
	v_add_co_u32_e32 v0, vcc, 0xffffffef, v103
	v_addc_co_u32_e64 v1, s[10:11], 0, -1, vcc
	v_cndmask_b32_e64 v47, v1, 0, s[2:3]
	v_cndmask_b32_e64 v46, v0, v103, s[2:3]
	s_movk_i32 s10, 0xf1
	v_lshlrev_b64 v[0:1], 3, v[46:47]
	v_mul_lo_u16_sdwa v45, v36, s10 dst_sel:DWORD dst_unused:UNUSED_PAD src0_sel:BYTE_0 src1_sel:DWORD
	v_lshrrev_b16_e32 v49, 12, v45
	v_mov_b32_e32 v37, s15
	v_add_co_u32_e32 v0, vcc, s14, v0
	v_mul_lo_u16_e32 v41, 17, v49
	v_addc_co_u32_e32 v1, vcc, v37, v1, vcc
	v_mul_lo_u16_sdwa v37, v38, s10 dst_sel:DWORD dst_unused:UNUSED_PAD src0_sel:BYTE_0 src1_sel:DWORD
	v_sub_u16_e32 v50, v36, v41
	v_add_u16_e32 v41, 0x66, v103
	v_lshrrev_b16_e32 v47, 12, v37
	v_mul_lo_u16_sdwa v43, v41, s10 dst_sel:DWORD dst_unused:UNUSED_PAD src0_sel:BYTE_0 src1_sel:DWORD
	v_mul_lo_u16_e32 v37, 17, v47
	v_lshrrev_b16_e32 v51, 12, v43
	v_sub_u16_e32 v48, v38, v37
	v_mov_b32_e32 v37, 3
	v_mul_lo_u16_e32 v52, 17, v51
	v_lshlrev_b32_sdwa v42, v37, v48 dst_sel:DWORD dst_unused:UNUSED_PAD src0_sel:DWORD src1_sel:BYTE_0
	v_sub_u16_e32 v52, v41, v52
	v_lshlrev_b32_sdwa v44, v37, v50 dst_sel:DWORD dst_unused:UNUSED_PAD src0_sel:DWORD src1_sel:BYTE_0
	v_lshlrev_b32_sdwa v53, v37, v52 dst_sel:DWORD dst_unused:UNUSED_PAD src0_sel:DWORD src1_sel:BYTE_0
	global_load_dwordx2 v[85:86], v[0:1], off
	global_load_dwordx2 v[83:84], v42, s[14:15]
	global_load_dwordx2 v[81:82], v44, s[14:15]
	;; [unrolled: 1-line block ×3, first 2 shown]
	v_add_u16_e32 v42, 0x88, v103
	v_add_u16_e32 v1, 0xaa, v103
	v_mul_lo_u16_sdwa v44, v42, s10 dst_sel:DWORD dst_unused:UNUSED_PAD src0_sel:BYTE_0 src1_sel:DWORD
	v_mul_lo_u16_sdwa v55, v1, s10 dst_sel:DWORD dst_unused:UNUSED_PAD src0_sel:BYTE_0 src1_sel:DWORD
	v_add_u16_e32 v57, 0xcc, v103
	v_lshrrev_b16_e32 v53, 12, v44
	v_lshrrev_b16_e32 v55, 12, v55
	v_mul_lo_u16_sdwa v58, v57, s10 dst_sel:DWORD dst_unused:UNUSED_PAD src0_sel:BYTE_0 src1_sel:DWORD
	v_mul_lo_u16_e32 v0, 17, v53
	v_mul_lo_u16_e32 v56, 17, v55
	v_lshrrev_b16_e32 v58, 12, v58
	v_sub_u16_e32 v54, v42, v0
	v_sub_u16_e32 v56, v1, v56
	v_mul_lo_u16_e32 v59, 17, v58
	v_lshlrev_b32_sdwa v0, v37, v54 dst_sel:DWORD dst_unused:UNUSED_PAD src0_sel:DWORD src1_sel:BYTE_0
	v_lshlrev_b32_sdwa v1, v37, v56 dst_sel:DWORD dst_unused:UNUSED_PAD src0_sel:DWORD src1_sel:BYTE_0
	v_sub_u16_e32 v57, v57, v59
	global_load_dwordx2 v[87:88], v0, s[14:15]
	global_load_dwordx2 v[91:92], v1, s[14:15]
	v_lshlrev_b32_sdwa v0, v37, v57 dst_sel:DWORD dst_unused:UNUSED_PAD src0_sel:DWORD src1_sel:BYTE_0
	v_add_u32_e32 v37, 0xee, v103
	s_mov_b32 s10, 0xf0f1
	v_mul_u32_u24_sdwa v1, v37, s10 dst_sel:DWORD dst_unused:UNUSED_PAD src0_sel:WORD_0 src1_sel:DWORD
	v_lshrrev_b32_e32 v1, 20, v1
	global_load_dwordx2 v[89:90], v0, s[14:15]
	v_mul_lo_u16_e32 v0, 17, v1
	v_sub_u16_e32 v205, v37, v0
	v_lshlrev_b32_e32 v0, 3, v205
	global_load_dwordx2 v[77:78], v0, s[14:15]
	v_cmp_lt_u16_e32 vcc, 16, v103
	s_load_dwordx4 s[8:11], s[8:9], 0x0
	s_waitcnt vmcnt(0) lgkmcnt(0)
	s_barrier
	v_addc_co_u32_e64 v37, s[4:5], 0, 0, s[4:5]
	v_mul_f32_e32 v0, v11, v86
	v_mul_f32_e32 v1, v10, v86
	;; [unrolled: 1-line block ×3, first 2 shown]
	v_fma_f32 v0, v10, v85, -v0
	v_mul_f32_e32 v60, v28, v84
	v_mul_f32_e32 v61, v31, v82
	;; [unrolled: 1-line block ×4, first 2 shown]
	v_fmac_f32_e32 v62, v31, v81
	v_mul_f32_e32 v59, v29, v84
	v_fmac_f32_e32 v60, v29, v83
	v_fma_f32 v29, v30, v81, -v61
	v_fma_f32 v30, v32, v79, -v63
	v_fmac_f32_e32 v64, v33, v79
	v_fma_f32 v28, v28, v83, -v59
	v_fmac_f32_e32 v1, v11, v85
	v_mul_f32_e32 v10, v35, v88
	v_fma_f32 v31, v34, v87, -v10
	v_mul_f32_e32 v10, v25, v92
	v_mul_f32_e32 v32, v34, v88
	v_fma_f32 v33, v24, v91, -v10
	v_fmac_f32_e32 v32, v35, v87
	v_mul_f32_e32 v34, v24, v92
	v_mul_f32_e32 v10, v27, v90
	v_fma_f32 v35, v26, v89, -v10
	v_fmac_f32_e32 v34, v25, v91
	v_mul_f32_e32 v59, v26, v90
	v_mul_f32_e32 v10, v7, v78
	v_fma_f32 v61, v6, v77, -v10
	v_mul_f32_e32 v63, v6, v78
	v_sub_f32_e32 v6, v12, v0
	v_fma_f32 v10, v12, 2.0, -v6
	v_sub_f32_e32 v12, v14, v28
	v_sub_f32_e32 v28, v16, v31
	;; [unrolled: 1-line block ×3, first 2 shown]
	v_cndmask_b32_e64 v34, 0, 34, vcc
	v_fmac_f32_e32 v63, v7, v77
	v_sub_f32_e32 v7, v13, v1
	v_add_u32_e32 v34, v46, v34
	v_fma_f32 v11, v13, 2.0, -v7
	v_add_lshl_u32 v209, v40, v34, 3
	ds_write2_b64 v209, v[10:11], v[6:7] offset1:17
	v_mad_legacy_u16 v6, v47, 34, v48
	v_and_b32_e32 v6, 0xff, v6
	v_add_lshl_u32 v213, v40, v6, 3
	v_mul_u32_u24_e32 v6, 34, v49
	v_add_u32_sdwa v6, v6, v50 dst_sel:DWORD dst_unused:UNUSED_PAD src0_sel:DWORD src1_sel:BYTE_0
	v_add_lshl_u32 v190, v40, v6, 3
	v_mul_u32_u24_e32 v6, 34, v51
	v_add_u32_sdwa v6, v6, v52 dst_sel:DWORD dst_unused:UNUSED_PAD src0_sel:DWORD src1_sel:BYTE_0
	;; [unrolled: 3-line block ×4, first 2 shown]
	v_fmac_f32_e32 v59, v27, v89
	v_add_lshl_u32 v202, v40, v6, 3
	v_mul_u32_u24_e32 v6, 34, v58
	v_sub_f32_e32 v13, v15, v60
	v_sub_f32_e32 v24, v20, v29
	;; [unrolled: 1-line block ×9, first 2 shown]
	v_add_u32_sdwa v6, v6, v57 dst_sel:DWORD dst_unused:UNUSED_PAD src0_sel:DWORD src1_sel:BYTE_0
	v_fma_f32 v14, v14, 2.0, -v12
	v_fma_f32 v15, v15, 2.0, -v13
	;; [unrolled: 1-line block ×12, first 2 shown]
	v_sub_f32_e32 v0, v4, v61
	v_sub_f32_e32 v1, v5, v63
	v_add_lshl_u32 v206, v40, v6, 3
	ds_write2_b64 v213, v[14:15], v[12:13] offset1:17
	ds_write2_b64 v190, v[20:21], v[24:25] offset1:17
	;; [unrolled: 1-line block ×6, first 2 shown]
	s_and_saveexec_b64 s[4:5], s[2:3]
	s_cbranch_execz .LBB0_11
; %bb.10:
	v_add_lshl_u32 v6, v40, v205, 3
	v_fma_f32 v5, v5, 2.0, -v1
	v_fma_f32 v4, v4, 2.0, -v0
	v_add_u32_e32 v6, 0x800, v6
	ds_write2_b64 v6, v[4:5], v[0:1] offset0:220 offset1:237
.LBB0_11:
	s_or_b64 exec, exec, s[4:5]
	v_lshrrev_b16_e32 v8, 13, v45
	v_lshlrev_b32_e32 v4, 4, v103
	v_mul_lo_u16_e32 v8, 34, v8
	s_waitcnt lgkmcnt(0)
	s_barrier
	global_load_dwordx4 v[4:7], v4, s[14:15] offset:136
	v_sub_u16_e32 v8, v36, v8
	v_and_b32_e32 v55, 0xff, v8
	v_lshlrev_b32_e32 v8, 4, v55
	global_load_dwordx4 v[16:19], v8, s[14:15] offset:136
	v_lshrrev_b16_e32 v9, 13, v43
	v_mul_lo_u16_e32 v9, 34, v9
	v_sub_u16_e32 v8, v41, v9
	v_lshrrev_b16_e32 v10, 13, v44
	v_and_b32_e32 v56, 0xff, v8
	v_mul_lo_u16_e32 v10, 34, v10
	v_lshlrev_b32_e32 v8, 4, v56
	global_load_dwordx4 v[12:15], v8, s[14:15] offset:136
	v_sub_u16_e32 v8, v42, v10
	v_and_b32_e32 v57, 0xff, v8
	v_lshlrev_b32_e32 v8, 4, v57
	global_load_dwordx4 v[8:11], v8, s[14:15] offset:136
	ds_read2_b64 v[20:23], v106 offset1:34
	ds_read2_b64 v[24:27], v106 offset0:136 offset1:170
	v_add_u32_e32 v68, 0x800, v106
	ds_read2_b64 v[28:31], v106 offset0:204 offset1:238
	ds_read2_b64 v[32:35], v106 offset0:68 offset1:102
	ds_read_b64 v[53:54], v106 offset:3808
	ds_read2_b64 v[41:44], v68 offset0:84 offset1:118
	ds_read2_b64 v[45:48], v68 offset0:152 offset1:186
	;; [unrolled: 1-line block ×3, first 2 shown]
	v_add_lshl_u32 v217, v40, v56, 3
	s_waitcnt vmcnt(0) lgkmcnt(0)
	s_barrier
	v_add_lshl_u32 v210, v40, v55, 3
	v_add_lshl_u32 v118, v40, v57, 3
	v_mov_b32_e32 v40, s15
	v_lshlrev_b64 v[36:37], 5, v[36:37]
	v_mul_f32_e32 v59, v26, v5
	v_mul_f32_e32 v61, v41, v7
	;; [unrolled: 1-line block ×4, first 2 shown]
	v_fmac_f32_e32 v59, v27, v4
	v_fmac_f32_e32 v61, v42, v6
	v_mul_f32_e32 v62, v29, v5
	v_mul_f32_e32 v63, v28, v5
	;; [unrolled: 1-line block ×4, first 2 shown]
	v_fma_f32 v26, v26, v4, -v58
	v_fma_f32 v27, v41, v6, -v60
	v_add_f32_e32 v58, v59, v61
	v_fma_f32 v42, v28, v4, -v62
	v_fmac_f32_e32 v63, v29, v4
	v_fma_f32 v43, v43, v6, -v64
	v_fmac_f32_e32 v65, v44, v6
	v_add_f32_e32 v28, v20, v26
	v_add_f32_e32 v29, v26, v27
	;; [unrolled: 1-line block ×3, first 2 shown]
	v_fma_f32 v21, -0.5, v58, v21
	v_mul_f32_e32 v58, v30, v17
	v_sub_f32_e32 v41, v59, v61
	v_sub_f32_e32 v59, v26, v27
	v_add_f32_e32 v26, v28, v27
	v_fma_f32 v20, -0.5, v29, v20
	v_add_f32_e32 v27, v44, v61
	v_mul_f32_e32 v44, v31, v17
	v_fmac_f32_e32 v58, v31, v16
	v_add_f32_e32 v31, v42, v43
	v_mov_b32_e32 v28, v20
	v_fma_f32 v73, v30, v16, -v44
	v_add_f32_e32 v30, v22, v42
	v_fma_f32 v22, -0.5, v31, v22
	v_mul_f32_e32 v60, v46, v19
	v_fmac_f32_e32 v20, 0xbf5db3d7, v41
	v_fmac_f32_e32 v28, 0x3f5db3d7, v41
	v_sub_f32_e32 v31, v63, v65
	v_mov_b32_e32 v41, v22
	v_add_f32_e32 v44, v63, v65
	v_fma_f32 v60, v45, v18, -v60
	v_fmac_f32_e32 v41, 0x3f5db3d7, v31
	v_fmac_f32_e32 v22, 0xbf5db3d7, v31
	v_add_f32_e32 v31, v23, v63
	v_fmac_f32_e32 v23, -0.5, v44
	v_mul_f32_e32 v61, v45, v19
	v_add_f32_e32 v30, v30, v43
	v_sub_f32_e32 v43, v42, v43
	v_mov_b32_e32 v42, v23
	v_add_f32_e32 v44, v73, v60
	v_fmac_f32_e32 v61, v46, v18
	v_fmac_f32_e32 v42, 0xbf5db3d7, v43
	;; [unrolled: 1-line block ×3, first 2 shown]
	v_add_f32_e32 v43, v32, v73
	v_fma_f32 v32, -0.5, v44, v32
	v_mul_f32_e32 v62, v50, v13
	v_mul_f32_e32 v64, v49, v13
	;; [unrolled: 1-line block ×3, first 2 shown]
	v_sub_f32_e32 v44, v58, v61
	v_mov_b32_e32 v45, v32
	v_add_f32_e32 v46, v58, v61
	v_mul_f32_e32 v67, v47, v15
	v_fma_f32 v62, v49, v12, -v62
	v_fmac_f32_e32 v64, v50, v12
	v_fma_f32 v50, v47, v14, -v66
	v_fmac_f32_e32 v45, 0x3f5db3d7, v44
	v_fmac_f32_e32 v32, 0xbf5db3d7, v44
	v_add_f32_e32 v44, v33, v58
	v_fma_f32 v33, -0.5, v46, v33
	v_fmac_f32_e32 v67, v48, v14
	v_sub_f32_e32 v47, v73, v60
	v_mov_b32_e32 v46, v33
	v_add_f32_e32 v48, v62, v50
	v_mul_f32_e32 v69, v52, v9
	v_fmac_f32_e32 v46, 0xbf5db3d7, v47
	v_fmac_f32_e32 v33, 0x3f5db3d7, v47
	v_add_f32_e32 v47, v34, v62
	v_fma_f32 v34, -0.5, v48, v34
	v_mul_f32_e32 v70, v51, v9
	v_mul_f32_e32 v71, v54, v11
	v_fma_f32 v66, v51, v8, -v69
	v_sub_f32_e32 v48, v64, v67
	v_mov_b32_e32 v49, v34
	v_add_f32_e32 v51, v64, v67
	v_fma_f32 v69, v53, v10, -v71
	v_fmac_f32_e32 v49, 0x3f5db3d7, v48
	v_fmac_f32_e32 v34, 0xbf5db3d7, v48
	v_add_f32_e32 v48, v35, v64
	v_fmac_f32_e32 v35, -0.5, v51
	v_mul_f32_e32 v72, v53, v11
	v_fmac_f32_e32 v70, v52, v8
	v_add_f32_e32 v47, v47, v50
	v_sub_f32_e32 v51, v62, v50
	v_mov_b32_e32 v50, v35
	v_add_f32_e32 v52, v66, v69
	v_fmac_f32_e32 v72, v54, v10
	v_fmac_f32_e32 v50, 0xbf5db3d7, v51
	;; [unrolled: 1-line block ×3, first 2 shown]
	v_add_f32_e32 v51, v24, v66
	v_fma_f32 v24, -0.5, v52, v24
	v_mov_b32_e32 v29, v21
	v_sub_f32_e32 v52, v70, v72
	v_mov_b32_e32 v53, v24
	v_add_f32_e32 v54, v70, v72
	v_fmac_f32_e32 v29, 0xbf5db3d7, v59
	v_fmac_f32_e32 v53, 0x3f5db3d7, v52
	;; [unrolled: 1-line block ×3, first 2 shown]
	v_add_f32_e32 v52, v25, v70
	v_fmac_f32_e32 v25, -0.5, v54
	v_fmac_f32_e32 v21, 0x3f5db3d7, v59
	v_add_f32_e32 v31, v31, v65
	v_add_f32_e32 v43, v43, v60
	;; [unrolled: 1-line block ×4, first 2 shown]
	v_sub_f32_e32 v58, v66, v69
	v_mov_b32_e32 v54, v25
	ds_write2_b64 v106, v[26:27], v[28:29] offset1:34
	ds_write2_b64 v106, v[20:21], v[30:31] offset0:68 offset1:102
	ds_write2_b64 v106, v[41:42], v[22:23] offset0:136 offset1:170
	v_add_u32_e32 v20, 0x800, v217
	v_add_f32_e32 v51, v51, v69
	v_add_f32_e32 v52, v52, v72
	v_fmac_f32_e32 v54, 0xbf5db3d7, v58
	v_fmac_f32_e32 v25, 0x3f5db3d7, v58
	ds_write2_b64 v210, v[43:44], v[45:46] offset0:204 offset1:238
	ds_write_b64 v210, v[32:33] offset:2176
	ds_write2_b64 v20, v[47:48], v[49:50] offset0:50 offset1:84
	ds_write_b64 v217, v[34:35] offset:2992
	v_add_u32_e32 v20, 0x800, v118
	v_lshlrev_b32_e32 v28, 5, v103
	ds_write2_b64 v20, v[51:52], v[53:54] offset0:152 offset1:186
	ds_write_b64 v118, v[24:25] offset:3808
	s_waitcnt lgkmcnt(0)
	s_barrier
	global_load_dwordx4 v[24:27], v28, s[14:15] offset:680
	global_load_dwordx4 v[20:23], v28, s[14:15] offset:696
	v_lshlrev_b64 v[28:29], 5, v[38:39]
	v_add_co_u32_e32 v38, vcc, s14, v28
	v_addc_co_u32_e32 v39, vcc, v40, v29, vcc
	global_load_dwordx4 v[32:35], v[38:39], off offset:680
	global_load_dwordx4 v[28:31], v[38:39], off offset:696
	v_add_co_u32_e32 v44, vcc, s14, v36
	v_addc_co_u32_e32 v45, vcc, v40, v37, vcc
	global_load_dwordx4 v[40:43], v[44:45], off offset:680
	global_load_dwordx4 v[36:39], v[44:45], off offset:696
	ds_read2_b64 v[44:47], v106 offset1:34
	ds_read2_b64 v[48:51], v106 offset0:68 offset1:102
	ds_read2_b64 v[52:55], v106 offset0:204 offset1:238
	;; [unrolled: 1-line block ×6, first 2 shown]
	ds_read_b64 v[72:73], v106 offset:3808
	s_waitcnt vmcnt(5) lgkmcnt(6)
	v_mul_f32_e32 v74, v51, v25
	v_fma_f32 v74, v50, v24, -v74
	v_mul_f32_e32 v50, v50, v25
	v_fmac_f32_e32 v50, v51, v24
	s_waitcnt lgkmcnt(5)
	v_mul_f32_e32 v51, v53, v27
	v_fma_f32 v51, v52, v26, -v51
	v_mul_f32_e32 v75, v52, v27
	s_waitcnt vmcnt(4) lgkmcnt(4)
	v_mul_f32_e32 v52, v59, v21
	v_fma_f32 v95, v58, v20, -v52
	s_waitcnt lgkmcnt(3)
	v_mul_f32_e32 v52, v61, v23
	v_fmac_f32_e32 v75, v53, v26
	v_fma_f32 v53, v60, v22, -v52
	s_waitcnt vmcnt(3) lgkmcnt(2)
	v_mul_f32_e32 v52, v65, v33
	v_fma_f32 v97, v64, v32, -v52
	v_mul_f32_e32 v52, v55, v35
	v_fma_f32 v99, v54, v34, -v52
	s_waitcnt vmcnt(2) lgkmcnt(1)
	v_mul_f32_e32 v52, v69, v29
	v_fma_f32 v101, v68, v28, -v52
	v_mul_f32_e32 v68, v68, v29
	v_mul_f32_e32 v52, v63, v31
	v_fmac_f32_e32 v68, v69, v28
	v_fma_f32 v69, v62, v30, -v52
	s_waitcnt vmcnt(1)
	v_mul_f32_e32 v52, v67, v41
	v_fma_f32 v107, v66, v40, -v52
	v_mul_f32_e32 v52, v57, v43
	v_fma_f32 v120, v56, v42, -v52
	s_waitcnt vmcnt(0)
	v_mul_f32_e32 v52, v71, v37
	v_fma_f32 v122, v70, v36, -v52
	v_mul_f32_e32 v123, v70, v37
	s_waitcnt lgkmcnt(0)
	v_mul_f32_e32 v52, v73, v39
	v_fmac_f32_e32 v123, v71, v36
	v_fma_f32 v71, v72, v38, -v52
	v_add_f32_e32 v52, v44, v74
	v_add_f32_e32 v52, v52, v51
	;; [unrolled: 1-line block ×3, first 2 shown]
	v_mul_f32_e32 v60, v60, v23
	v_add_f32_e32 v93, v52, v53
	v_add_f32_e32 v52, v51, v95
	v_mul_f32_e32 v96, v58, v21
	v_fmac_f32_e32 v60, v61, v22
	v_mul_f32_e32 v100, v54, v35
	v_fma_f32 v58, -0.5, v52, v44
	v_fmac_f32_e32 v96, v59, v20
	v_fmac_f32_e32 v100, v55, v34
	v_mul_f32_e32 v121, v56, v43
	v_sub_f32_e32 v55, v50, v60
	v_mov_b32_e32 v52, v58
	v_fmac_f32_e32 v121, v57, v42
	v_fmac_f32_e32 v52, 0x3f737871, v55
	v_sub_f32_e32 v57, v75, v96
	v_sub_f32_e32 v54, v74, v51
	;; [unrolled: 1-line block ×3, first 2 shown]
	v_fmac_f32_e32 v58, 0xbf737871, v55
	v_fmac_f32_e32 v52, 0x3f167918, v57
	v_add_f32_e32 v54, v54, v56
	v_fmac_f32_e32 v58, 0xbf167918, v57
	v_fmac_f32_e32 v52, 0x3e9e377a, v54
	;; [unrolled: 1-line block ×3, first 2 shown]
	v_add_f32_e32 v54, v74, v53
	v_fma_f32 v56, -0.5, v54, v44
	v_mov_b32_e32 v54, v56
	v_fmac_f32_e32 v54, 0xbf737871, v57
	v_sub_f32_e32 v44, v51, v74
	v_sub_f32_e32 v59, v95, v53
	v_fmac_f32_e32 v56, 0x3f737871, v57
	v_fmac_f32_e32 v54, 0x3f167918, v55
	v_add_f32_e32 v44, v44, v59
	v_fmac_f32_e32 v56, 0xbf167918, v55
	v_fmac_f32_e32 v54, 0x3e9e377a, v44
	;; [unrolled: 1-line block ×3, first 2 shown]
	v_add_f32_e32 v44, v45, v50
	v_add_f32_e32 v44, v44, v75
	v_add_f32_e32 v44, v44, v96
	v_add_f32_e32 v94, v44, v60
	v_add_f32_e32 v44, v75, v96
	v_fma_f32 v59, -0.5, v44, v45
	v_sub_f32_e32 v44, v74, v53
	v_mov_b32_e32 v53, v59
	v_fmac_f32_e32 v53, 0xbf737871, v44
	v_sub_f32_e32 v51, v51, v95
	v_sub_f32_e32 v55, v50, v75
	;; [unrolled: 1-line block ×3, first 2 shown]
	v_fmac_f32_e32 v59, 0x3f737871, v44
	v_fmac_f32_e32 v53, 0xbf167918, v51
	v_add_f32_e32 v55, v55, v57
	v_fmac_f32_e32 v59, 0x3f167918, v51
	v_fmac_f32_e32 v53, 0x3e9e377a, v55
	v_fmac_f32_e32 v59, 0x3e9e377a, v55
	v_add_f32_e32 v55, v50, v60
	v_fma_f32 v57, -0.5, v55, v45
	v_mov_b32_e32 v55, v57
	v_fmac_f32_e32 v55, 0x3f737871, v51
	v_fmac_f32_e32 v57, 0xbf737871, v51
	;; [unrolled: 1-line block ×4, first 2 shown]
	v_add_f32_e32 v44, v46, v97
	v_add_f32_e32 v44, v44, v99
	;; [unrolled: 1-line block ×3, first 2 shown]
	v_mul_f32_e32 v98, v64, v33
	v_mul_f32_e32 v102, v62, v31
	v_sub_f32_e32 v45, v75, v50
	v_sub_f32_e32 v50, v96, v60
	v_add_f32_e32 v60, v44, v69
	v_add_f32_e32 v44, v99, v101
	v_fmac_f32_e32 v98, v65, v32
	v_fmac_f32_e32 v102, v63, v30
	v_add_f32_e32 v45, v45, v50
	v_fma_f32 v64, -0.5, v44, v46
	v_fmac_f32_e32 v55, 0x3e9e377a, v45
	v_fmac_f32_e32 v57, 0x3e9e377a, v45
	v_sub_f32_e32 v45, v98, v102
	v_mov_b32_e32 v62, v64
	v_fmac_f32_e32 v62, 0x3f737871, v45
	v_sub_f32_e32 v50, v100, v68
	v_sub_f32_e32 v44, v97, v99
	;; [unrolled: 1-line block ×3, first 2 shown]
	v_fmac_f32_e32 v64, 0xbf737871, v45
	v_fmac_f32_e32 v62, 0x3f167918, v50
	v_add_f32_e32 v44, v44, v51
	v_fmac_f32_e32 v64, 0xbf167918, v50
	v_fmac_f32_e32 v62, 0x3e9e377a, v44
	;; [unrolled: 1-line block ×3, first 2 shown]
	v_add_f32_e32 v44, v97, v69
	v_fma_f32 v46, -0.5, v44, v46
	v_mov_b32_e32 v44, v46
	v_fmac_f32_e32 v44, 0xbf737871, v50
	v_fmac_f32_e32 v46, 0x3f737871, v50
	;; [unrolled: 1-line block ×4, first 2 shown]
	v_add_f32_e32 v45, v47, v98
	v_add_f32_e32 v45, v45, v100
	v_sub_f32_e32 v51, v99, v97
	v_sub_f32_e32 v61, v101, v69
	v_add_f32_e32 v45, v45, v68
	v_add_f32_e32 v51, v51, v61
	;; [unrolled: 1-line block ×4, first 2 shown]
	v_fma_f32 v65, -0.5, v45, v47
	v_sub_f32_e32 v50, v97, v69
	v_mov_b32_e32 v63, v65
	v_mul_f32_e32 v119, v66, v41
	v_fmac_f32_e32 v44, 0x3e9e377a, v51
	v_fmac_f32_e32 v46, 0x3e9e377a, v51
	v_fmac_f32_e32 v63, 0xbf737871, v50
	v_sub_f32_e32 v51, v99, v101
	v_sub_f32_e32 v45, v98, v100
	;; [unrolled: 1-line block ×3, first 2 shown]
	v_fmac_f32_e32 v65, 0x3f737871, v50
	v_fmac_f32_e32 v63, 0xbf167918, v51
	v_add_f32_e32 v45, v45, v66
	v_fmac_f32_e32 v65, 0x3f167918, v51
	v_fmac_f32_e32 v63, 0x3e9e377a, v45
	;; [unrolled: 1-line block ×3, first 2 shown]
	v_add_f32_e32 v45, v98, v102
	v_fmac_f32_e32 v47, -0.5, v45
	v_mov_b32_e32 v45, v47
	v_fmac_f32_e32 v45, 0x3f737871, v51
	v_fmac_f32_e32 v47, 0xbf737871, v51
	;; [unrolled: 1-line block ×4, first 2 shown]
	v_add_f32_e32 v50, v48, v107
	v_fmac_f32_e32 v119, v67, v40
	v_sub_f32_e32 v66, v100, v98
	v_sub_f32_e32 v67, v68, v102
	v_add_f32_e32 v50, v50, v120
	v_add_f32_e32 v66, v66, v67
	;; [unrolled: 1-line block ×3, first 2 shown]
	v_mul_f32_e32 v72, v72, v39
	v_fmac_f32_e32 v45, 0x3e9e377a, v66
	v_fmac_f32_e32 v47, 0x3e9e377a, v66
	v_add_f32_e32 v66, v50, v71
	v_add_f32_e32 v50, v120, v122
	v_fmac_f32_e32 v72, v73, v38
	v_fma_f32 v50, -0.5, v50, v48
	v_sub_f32_e32 v51, v119, v72
	v_mov_b32_e32 v68, v50
	v_fmac_f32_e32 v68, 0x3f737871, v51
	v_sub_f32_e32 v67, v121, v123
	v_sub_f32_e32 v69, v107, v120
	;; [unrolled: 1-line block ×3, first 2 shown]
	v_fmac_f32_e32 v50, 0xbf737871, v51
	v_fmac_f32_e32 v68, 0x3f167918, v67
	v_add_f32_e32 v69, v69, v70
	v_fmac_f32_e32 v50, 0xbf167918, v67
	v_fmac_f32_e32 v68, 0x3e9e377a, v69
	;; [unrolled: 1-line block ×3, first 2 shown]
	v_add_f32_e32 v69, v107, v71
	v_fma_f32 v48, -0.5, v69, v48
	v_mov_b32_e32 v70, v48
	v_fmac_f32_e32 v70, 0xbf737871, v67
	v_fmac_f32_e32 v48, 0x3f737871, v67
	;; [unrolled: 1-line block ×4, first 2 shown]
	v_add_f32_e32 v51, v49, v119
	v_add_f32_e32 v51, v51, v121
	v_add_f32_e32 v51, v51, v123
	v_sub_f32_e32 v69, v120, v107
	v_sub_f32_e32 v73, v122, v71
	v_add_f32_e32 v67, v51, v72
	v_add_f32_e32 v51, v121, v123
	;; [unrolled: 1-line block ×3, first 2 shown]
	v_fma_f32 v51, -0.5, v51, v49
	v_fmac_f32_e32 v70, 0x3e9e377a, v69
	v_fmac_f32_e32 v48, 0x3e9e377a, v69
	v_sub_f32_e32 v73, v107, v71
	v_mov_b32_e32 v69, v51
	v_fmac_f32_e32 v69, 0xbf737871, v73
	v_sub_f32_e32 v74, v120, v122
	v_sub_f32_e32 v71, v119, v121
	;; [unrolled: 1-line block ×3, first 2 shown]
	v_fmac_f32_e32 v51, 0x3f737871, v73
	v_fmac_f32_e32 v69, 0xbf167918, v74
	v_add_f32_e32 v71, v71, v75
	v_fmac_f32_e32 v51, 0x3f167918, v74
	v_fmac_f32_e32 v69, 0x3e9e377a, v71
	;; [unrolled: 1-line block ×3, first 2 shown]
	v_add_f32_e32 v71, v119, v72
	v_fmac_f32_e32 v49, -0.5, v71
	v_mov_b32_e32 v71, v49
	v_fmac_f32_e32 v71, 0x3f737871, v74
	v_sub_f32_e32 v75, v121, v119
	v_sub_f32_e32 v72, v123, v72
	v_fmac_f32_e32 v49, 0xbf737871, v74
	v_fmac_f32_e32 v71, 0xbf167918, v73
	v_add_f32_e32 v72, v75, v72
	v_fmac_f32_e32 v49, 0x3f167918, v73
	v_lshl_add_u32 v107, v103, 3, v201
	v_fmac_f32_e32 v71, 0x3e9e377a, v72
	v_fmac_f32_e32 v49, 0x3e9e377a, v72
	v_add_u32_e32 v72, 0x800, v107
	v_add_u32_e32 v73, 0x400, v107
	ds_write_b64 v107, v[93:94]
	ds_write2_b64 v107, v[52:53], v[62:63] offset0:102 offset1:136
	ds_write2_b64 v72, v[56:57], v[46:47] offset0:50 offset1:84
	;; [unrolled: 1-line block ×7, first 2 shown]
	s_waitcnt lgkmcnt(0)
	s_barrier
	s_and_saveexec_b64 s[4:5], s[0:1]
	s_cbranch_execz .LBB0_13
; %bb.12:
	global_load_dwordx2 v[73:74], v104, s[6:7] offset:4080
	s_add_u32 s14, s6, 0xff0
	s_addc_u32 s15, s7, 0
	global_load_dwordx2 v[139:140], v104, s[14:15] offset:240
	global_load_dwordx2 v[141:142], v104, s[14:15] offset:480
	;; [unrolled: 1-line block ×14, first 2 shown]
	ds_read_b64 v[95:96], v107
	global_load_dwordx2 v[167:168], v104, s[14:15] offset:3600
	global_load_dwordx2 v[169:170], v104, s[14:15] offset:3840
	s_waitcnt vmcnt(16) lgkmcnt(0)
	v_mul_f32_e32 v97, v96, v74
	v_mul_f32_e32 v75, v95, v74
	v_fma_f32 v74, v95, v73, -v97
	v_fmac_f32_e32 v75, v96, v73
	ds_write_b64 v107, v[74:75]
	ds_read2_b64 v[95:98], v107 offset0:30 offset1:60
	ds_read2_b64 v[99:102], v107 offset0:90 offset1:120
	;; [unrolled: 1-line block ×7, first 2 shown]
	s_waitcnt vmcnt(15) lgkmcnt(6)
	v_mul_f32_e32 v73, v96, v140
	v_mul_f32_e32 v74, v95, v140
	s_waitcnt vmcnt(14)
	v_mul_f32_e32 v75, v98, v142
	v_mul_f32_e32 v140, v97, v142
	s_waitcnt vmcnt(13) lgkmcnt(5)
	v_mul_f32_e32 v171, v100, v144
	v_mul_f32_e32 v142, v99, v144
	s_waitcnt vmcnt(12)
	v_mul_f32_e32 v172, v102, v146
	v_mul_f32_e32 v144, v101, v146
	;; [unrolled: 6-line block ×6, first 2 shown]
	v_fma_f32 v73, v95, v139, -v73
	v_fmac_f32_e32 v74, v96, v139
	v_fma_f32 v139, v97, v141, -v75
	v_fmac_f32_e32 v140, v98, v141
	;; [unrolled: 2-line block ×12, first 2 shown]
	ds_write2_b64 v107, v[73:74], v[139:140] offset0:30 offset1:60
	ds_write2_b64 v107, v[141:142], v[143:144] offset0:90 offset1:120
	;; [unrolled: 1-line block ×6, first 2 shown]
	ds_read2_b64 v[95:98], v72 offset0:194 offset1:224
	s_waitcnt vmcnt(3) lgkmcnt(7)
	v_mul_f32_e32 v181, v136, v164
	v_mul_f32_e32 v162, v135, v164
	s_waitcnt vmcnt(2)
	v_mul_f32_e32 v164, v138, v166
	v_mul_f32_e32 v74, v137, v166
	v_fma_f32 v161, v135, v163, -v181
	v_fmac_f32_e32 v162, v136, v163
	v_fma_f32 v73, v137, v165, -v164
	v_fmac_f32_e32 v74, v138, v165
	ds_write2_b64 v72, v[161:162], v[73:74] offset0:134 offset1:164
	s_waitcnt vmcnt(1) lgkmcnt(1)
	v_mul_f32_e32 v74, v95, v168
	v_mul_f32_e32 v73, v96, v168
	v_fmac_f32_e32 v74, v96, v167
	s_waitcnt vmcnt(0)
	v_mul_f32_e32 v75, v98, v170
	v_mul_f32_e32 v96, v97, v170
	v_fma_f32 v73, v95, v167, -v73
	v_fma_f32 v95, v97, v169, -v75
	v_fmac_f32_e32 v96, v98, v169
	ds_write2_b64 v72, v[73:74], v[95:96] offset0:194 offset1:224
.LBB0_13:
	s_or_b64 exec, exec, s[4:5]
	s_waitcnt lgkmcnt(0)
	s_barrier
	s_and_saveexec_b64 s[4:5], s[0:1]
	s_cbranch_execz .LBB0_15
; %bb.14:
	ds_read_b64 v[93:94], v107
	ds_read2_b64 v[52:55], v107 offset0:30 offset1:60
	ds_read2_b64 v[56:59], v107 offset0:90 offset1:120
	;; [unrolled: 1-line block ×4, first 2 shown]
	v_add_u32_e32 v0, 0x800, v107
	ds_read2_b64 v[64:67], v0 offset0:14 offset1:44
	ds_read2_b64 v[68:71], v0 offset0:74 offset1:104
	;; [unrolled: 1-line block ×4, first 2 shown]
.LBB0_15:
	s_or_b64 exec, exec, s[4:5]
	s_waitcnt lgkmcnt(0)
	v_sub_f32_e32 v135, v53, v3
	v_add_f32_e32 v119, v2, v52
	v_add_f32_e32 v137, v3, v53
	s_mov_b32 s14, 0x3f3d2fb0
	v_mul_f32_e32 v141, 0xbf2c7751, v135
	v_sub_f32_e32 v136, v55, v1
	v_mul_f32_e32 v144, 0x3f3d2fb0, v137
	v_fma_f32 v72, v119, s14, -v141
	v_add_f32_e32 v120, v0, v54
	v_add_f32_e32 v139, v1, v55
	v_mul_f32_e32 v145, 0xbf7ee86f, v136
	v_sub_f32_e32 v121, v52, v2
	v_add_f32_e32 v72, v93, v72
	v_mov_b32_e32 v73, v144
	v_mul_f32_e32 v148, 0x3dbcf732, v139
	v_fma_f32 v95, v120, s16, -v145
	v_fmac_f32_e32 v73, 0xbf2c7751, v121
	s_mov_b32 s15, 0x3ee437d1
	v_mul_f32_e32 v150, 0xbf65296c, v135
	v_sub_f32_e32 v123, v54, v0
	v_add_f32_e32 v72, v95, v72
	v_mov_b32_e32 v95, v148
	v_add_f32_e32 v73, v94, v73
	v_mul_f32_e32 v156, 0x3ee437d1, v137
	v_fma_f32 v74, v119, s15, -v150
	v_fmac_f32_e32 v95, 0xbf7ee86f, v123
	s_mov_b32 s17, 0xbf1a4643
	v_mul_f32_e32 v158, 0xbf4c4adb, v136
	v_add_f32_e32 v74, v93, v74
	v_mov_b32_e32 v75, v156
	v_add_f32_e32 v73, v95, v73
	v_mul_f32_e32 v162, 0xbf1a4643, v139
	v_fma_f32 v95, v120, s17, -v158
	v_fmac_f32_e32 v75, 0xbf65296c, v121
	v_add_f32_e32 v74, v95, v74
	v_mov_b32_e32 v95, v162
	v_sub_f32_e32 v138, v57, v51
	v_add_f32_e32 v75, v94, v75
	v_fmac_f32_e32 v95, 0xbf4c4adb, v123
	v_add_f32_e32 v122, v50, v56
	v_add_f32_e32 v142, v51, v57
	v_mul_f32_e32 v149, 0xbf4c4adb, v138
	v_add_f32_e32 v75, v95, v75
	v_mul_f32_e32 v153, 0xbf1a4643, v142
	v_fma_f32 v95, v122, s17, -v149
	v_sub_f32_e32 v125, v56, v50
	v_add_f32_e32 v72, v95, v72
	v_mov_b32_e32 v95, v153
	v_fmac_f32_e32 v95, 0xbf4c4adb, v125
	s_mov_b32 s18, 0xbf7ba420
	v_mul_f32_e32 v163, 0x3e3c28d5, v138
	v_add_f32_e32 v73, v95, v73
	v_mul_f32_e32 v167, 0xbf7ba420, v142
	v_fma_f32 v95, v122, s18, -v163
	v_add_f32_e32 v74, v95, v74
	v_mov_b32_e32 v95, v167
	v_sub_f32_e32 v140, v59, v49
	v_fmac_f32_e32 v95, 0x3e3c28d5, v125
	v_add_f32_e32 v124, v48, v58
	v_add_f32_e32 v146, v49, v59
	v_mul_f32_e32 v154, 0xbe3c28d5, v140
	v_add_f32_e32 v75, v95, v75
	v_mul_f32_e32 v159, 0xbf7ba420, v146
	v_fma_f32 v95, v124, s18, -v154
	v_sub_f32_e32 v127, v58, v48
	v_add_f32_e32 v72, v95, v72
	v_mov_b32_e32 v95, v159
	v_fmac_f32_e32 v95, 0xbe3c28d5, v127
	s_mov_b32 s19, 0xbe8c1d8e
	v_mul_f32_e32 v168, 0x3f763a35, v140
	v_add_f32_e32 v73, v95, v73
	v_mul_f32_e32 v171, 0xbe8c1d8e, v146
	v_fma_f32 v95, v124, s19, -v168
	v_add_f32_e32 v74, v95, v74
	v_mov_b32_e32 v95, v171
	v_sub_f32_e32 v143, v61, v71
	v_fmac_f32_e32 v95, 0x3f763a35, v127
	v_add_f32_e32 v126, v70, v60
	v_add_f32_e32 v151, v71, v61
	s_mov_b32 s20, 0xbf59a7d5
	v_mul_f32_e32 v160, 0x3f06c442, v143
	v_add_f32_e32 v75, v95, v75
	v_mul_f32_e32 v166, 0xbf59a7d5, v151
	v_fma_f32 v95, v126, s20, -v160
	v_sub_f32_e32 v129, v60, v70
	v_add_f32_e32 v72, v95, v72
	v_mov_b32_e32 v95, v166
	v_fmac_f32_e32 v95, 0x3f06c442, v129
	v_mul_f32_e32 v172, 0x3f2c7751, v143
	v_add_f32_e32 v73, v95, v73
	v_mul_f32_e32 v175, 0x3f3d2fb0, v151
	v_fma_f32 v95, v126, s14, -v172
	v_add_f32_e32 v74, v95, v74
	v_mov_b32_e32 v95, v175
	v_sub_f32_e32 v147, v63, v69
	v_fmac_f32_e32 v95, 0x3f2c7751, v129
	v_add_f32_e32 v128, v68, v62
	v_add_f32_e32 v157, v69, v63
	v_mul_f32_e32 v164, 0x3f763a35, v147
	v_add_f32_e32 v75, v95, v75
	v_mul_f32_e32 v169, 0xbe8c1d8e, v157
	v_fma_f32 v95, v128, s19, -v164
	v_sub_f32_e32 v131, v62, v68
	v_add_f32_e32 v72, v95, v72
	v_mov_b32_e32 v95, v169
	v_fmac_f32_e32 v95, 0x3f763a35, v131
	s_mov_b32 s21, 0x3f6eb680
	v_mul_f32_e32 v176, 0xbeb8f4ab, v147
	v_add_f32_e32 v73, v95, v73
	v_mul_f32_e32 v179, 0x3f6eb680, v157
	v_fma_f32 v95, v128, s21, -v176
	v_add_f32_e32 v74, v95, v74
	v_mov_b32_e32 v95, v179
	v_sub_f32_e32 v152, v45, v67
	v_fmac_f32_e32 v95, 0xbeb8f4ab, v131
	v_add_f32_e32 v130, v66, v44
	v_add_f32_e32 v161, v67, v45
	v_mul_f32_e32 v170, 0x3f65296c, v152
	v_add_f32_e32 v75, v95, v75
	v_mul_f32_e32 v174, 0x3ee437d1, v161
	v_fma_f32 v95, v130, s15, -v170
	v_sub_f32_e32 v133, v44, v66
	v_add_f32_e32 v72, v95, v72
	v_mov_b32_e32 v95, v174
	v_fmac_f32_e32 v95, 0x3f65296c, v133
	v_mul_f32_e32 v178, 0xbf7ee86f, v152
	v_add_f32_e32 v73, v95, v73
	v_mul_f32_e32 v181, 0x3dbcf732, v161
	v_fma_f32 v95, v130, s16, -v178
	v_add_f32_e32 v95, v95, v74
	v_mov_b32_e32 v74, v181
	v_sub_f32_e32 v155, v47, v65
	v_fmac_f32_e32 v74, 0xbf7ee86f, v133
	v_add_f32_e32 v132, v64, v46
	v_add_f32_e32 v165, v65, v47
	v_mul_f32_e32 v173, 0x3eb8f4ab, v155
	v_add_f32_e32 v96, v74, v75
	v_mul_f32_e32 v177, 0x3f6eb680, v165
	v_fma_f32 v74, v132, s21, -v173
	v_sub_f32_e32 v134, v46, v64
	v_add_f32_e32 v74, v74, v72
	v_mov_b32_e32 v72, v177
	v_fmac_f32_e32 v72, 0x3eb8f4ab, v134
	v_mul_f32_e32 v182, 0xbf59a7d5, v165
	v_add_f32_e32 v75, v72, v73
	v_mul_f32_e32 v180, 0xbf06c442, v155
	v_mov_b32_e32 v73, v182
	v_fma_f32 v72, v132, s20, -v180
	v_fmac_f32_e32 v73, 0xbf06c442, v134
	v_add_f32_e32 v72, v72, v95
	v_add_f32_e32 v73, v73, v96
	s_barrier
	s_and_saveexec_b64 s[4:5], s[0:1]
	s_cbranch_execz .LBB0_17
; %bb.16:
	v_mul_f32_e32 v185, 0xbf763a35, v121
	v_mov_b32_e32 v95, v185
	v_mul_f32_e32 v186, 0x3f06c442, v123
	v_fmac_f32_e32 v95, 0xbe8c1d8e, v137
	v_mov_b32_e32 v96, v186
	v_add_f32_e32 v95, v94, v95
	v_fmac_f32_e32 v96, 0xbf59a7d5, v139
	v_mul_f32_e32 v187, 0x3f2c7751, v125
	v_add_f32_e32 v95, v96, v95
	v_mov_b32_e32 v96, v187
	v_fmac_f32_e32 v96, 0x3f3d2fb0, v142
	v_mul_f32_e32 v188, 0xbf65296c, v127
	v_add_f32_e32 v95, v96, v95
	v_mov_b32_e32 v96, v188
	;; [unrolled: 4-line block ×6, first 2 shown]
	v_fmac_f32_e32 v96, 0xbf1a4643, v165
	v_mul_f32_e32 v225, 0xbf763a35, v135
	v_add_f32_e32 v96, v96, v95
	v_fma_f32 v95, v119, s19, -v225
	v_mul_f32_e32 v226, 0x3f06c442, v136
	v_add_f32_e32 v95, v93, v95
	v_fma_f32 v97, v120, s20, -v226
	;; [unrolled: 3-line block ×8, first 2 shown]
	v_mul_f32_e32 v101, 0xbf06c442, v121
	v_add_f32_e32 v95, v97, v95
	v_mov_b32_e32 v97, v101
	v_mul_f32_e32 v102, 0x3f65296c, v123
	v_add_f32_e32 v53, v53, v94
	v_fmac_f32_e32 v97, 0xbf59a7d5, v137
	v_mov_b32_e32 v98, v102
	v_add_f32_e32 v53, v55, v53
	v_add_f32_e32 v97, v94, v97
	v_fmac_f32_e32 v98, 0x3ee437d1, v139
	v_mul_f32_e32 v183, 0xbf7ee86f, v125
	v_add_f32_e32 v53, v57, v53
	v_add_f32_e32 v97, v98, v97
	v_mov_b32_e32 v98, v183
	v_add_f32_e32 v53, v59, v53
	v_fmac_f32_e32 v98, 0x3dbcf732, v142
	v_mul_f32_e32 v184, 0x3f4c4adb, v127
	v_add_f32_e32 v53, v61, v53
	v_add_f32_e32 v97, v98, v97
	v_mov_b32_e32 v98, v184
	;; [unrolled: 6-line block ×4, first 2 shown]
	v_add_f32_e32 v45, v67, v45
	v_mul_f32_e32 v192, 0xbf65296c, v121
	v_fmac_f32_e32 v98, 0xbf7ba420, v157
	v_mul_f32_e32 v235, 0x3f2c7751, v133
	v_add_f32_e32 v45, v69, v45
	v_mul_f32_e32 v196, 0xbf4c4adb, v123
	v_add_f32_e32 v97, v98, v97
	v_mov_b32_e32 v98, v235
	v_sub_f32_e32 v156, v156, v192
	v_add_f32_e32 v45, v71, v45
	v_mul_f32_e32 v200, 0x3e3c28d5, v125
	v_fmac_f32_e32 v98, 0x3f3d2fb0, v161
	v_mul_f32_e32 v236, 0xbf763a35, v134
	v_add_f32_e32 v156, v94, v156
	v_sub_f32_e32 v162, v162, v196
	v_add_f32_e32 v45, v49, v45
	v_mul_f32_e32 v204, 0x3f763a35, v127
	v_add_f32_e32 v97, v98, v97
	v_mov_b32_e32 v98, v236
	v_add_f32_e32 v156, v162, v156
	v_sub_f32_e32 v162, v167, v200
	v_add_f32_e32 v45, v51, v45
	v_mul_f32_e32 v208, 0x3f2c7751, v129
	v_fmac_f32_e32 v98, 0xbe8c1d8e, v165
	v_mul_f32_e32 v237, 0xbf06c442, v135
	v_add_f32_e32 v156, v162, v156
	v_sub_f32_e32 v162, v171, v204
	v_add_f32_e32 v1, v1, v45
	v_mul_f32_e32 v212, 0xbeb8f4ab, v131
	v_add_f32_e32 v98, v98, v97
	v_fma_f32 v97, v119, s20, -v237
	v_mul_f32_e32 v238, 0x3f65296c, v136
	v_add_f32_e32 v156, v162, v156
	v_sub_f32_e32 v162, v175, v208
	v_add_f32_e32 v1, v3, v1
	v_add_f32_e32 v3, v52, v93
	v_mul_f32_e32 v216, 0xbf7ee86f, v133
	v_add_f32_e32 v97, v93, v97
	v_fma_f32 v99, v120, s15, -v238
	v_mul_f32_e32 v239, 0xbf7ee86f, v138
	v_add_f32_e32 v156, v162, v156
	v_sub_f32_e32 v162, v179, v212
	v_add_f32_e32 v3, v54, v3
	v_mul_f32_e32 v191, 0x3ee437d1, v119
	v_mul_f32_e32 v220, 0xbf06c442, v134
	v_add_f32_e32 v97, v99, v97
	v_fma_f32 v99, v122, s16, -v239
	v_mul_f32_e32 v240, 0x3f4c4adb, v140
	v_add_f32_e32 v156, v162, v156
	v_sub_f32_e32 v162, v181, v216
	v_add_f32_e32 v3, v56, v3
	v_mul_f32_e32 v195, 0xbf1a4643, v120
	v_add_f32_e32 v97, v99, v97
	v_fma_f32 v99, v124, s17, -v240
	v_mul_f32_e32 v241, 0xbeb8f4ab, v143
	v_add_f32_e32 v156, v162, v156
	v_sub_f32_e32 v162, v182, v220
	v_add_f32_e32 v150, v191, v150
	v_add_f32_e32 v3, v58, v3
	v_mul_f32_e32 v199, 0xbf7ba420, v122
	v_add_f32_e32 v97, v99, v97
	v_fma_f32 v99, v126, s21, -v241
	v_mul_f32_e32 v242, 0xbe3c28d5, v147
	v_add_f32_e32 v179, v162, v156
	v_add_f32_e32 v150, v93, v150
	;; [unrolled: 1-line block ×4, first 2 shown]
	v_mul_f32_e32 v203, 0xbe8c1d8e, v124
	v_add_f32_e32 v97, v99, v97
	v_fma_f32 v99, v128, s18, -v242
	v_mul_f32_e32 v243, 0x3f2c7751, v152
	v_add_f32_e32 v150, v156, v150
	v_add_f32_e32 v156, v199, v163
	v_add_f32_e32 v3, v62, v3
	v_mul_f32_e32 v207, 0x3f3d2fb0, v126
	v_add_f32_e32 v97, v99, v97
	v_fma_f32 v99, v130, s14, -v243
	v_mul_f32_e32 v244, 0xbf763a35, v155
	v_add_f32_e32 v150, v156, v150
	v_add_f32_e32 v156, v203, v168
	v_add_f32_e32 v3, v44, v3
	;; [unrolled: 7-line block ×3, first 2 shown]
	v_mul_f32_e32 v215, 0x3dbcf732, v130
	v_add_f32_e32 v97, v99, v97
	v_mov_b32_e32 v99, v245
	v_mul_f32_e32 v246, 0x3f6eb680, v139
	v_add_f32_e32 v150, v156, v150
	v_add_f32_e32 v156, v211, v176
	;; [unrolled: 1-line block ×3, first 2 shown]
	v_mul_f32_e32 v219, 0xbf59a7d5, v132
	v_fmac_f32_e32 v99, 0x3e3c28d5, v121
	v_mov_b32_e32 v100, v246
	v_add_f32_e32 v150, v156, v150
	v_add_f32_e32 v156, v215, v178
	;; [unrolled: 1-line block ×4, first 2 shown]
	v_fmac_f32_e32 v100, 0xbeb8f4ab, v123
	v_mul_f32_e32 v247, 0xbf59a7d5, v142
	v_add_f32_e32 v150, v156, v150
	v_add_f32_e32 v156, v219, v180
	;; [unrolled: 1-line block ×4, first 2 shown]
	v_mov_b32_e32 v100, v247
	v_add_f32_e32 v178, v156, v150
	v_mul_f32_e32 v150, 0xbf2c7751, v121
	v_add_f32_e32 v3, v70, v3
	v_fmac_f32_e32 v100, 0x3f06c442, v125
	v_mul_f32_e32 v248, 0x3f3d2fb0, v146
	v_sub_f32_e32 v144, v144, v150
	v_mul_f32_e32 v150, 0xbf7ee86f, v123
	v_add_f32_e32 v3, v48, v3
	v_add_f32_e32 v99, v100, v99
	v_mov_b32_e32 v100, v248
	v_fma_f32 v101, v137, s20, -v101
	v_add_f32_e32 v144, v94, v144
	v_sub_f32_e32 v148, v148, v150
	v_add_f32_e32 v3, v50, v3
	v_fmac_f32_e32 v100, 0xbf2c7751, v127
	v_mul_f32_e32 v249, 0xbf1a4643, v151
	v_add_f32_e32 v101, v94, v101
	v_fma_f32 v102, v139, s15, -v102
	v_add_f32_e32 v144, v148, v144
	v_mul_f32_e32 v148, 0xbf4c4adb, v125
	v_add_f32_e32 v0, v0, v3
	v_fmac_f32_e32 v245, 0xbe3c28d5, v121
	v_add_f32_e32 v99, v100, v99
	v_mov_b32_e32 v100, v249
	v_add_f32_e32 v101, v102, v101
	v_fma_f32 v102, v142, s16, -v183
	v_sub_f32_e32 v148, v153, v148
	v_add_f32_e32 v0, v2, v0
	v_add_f32_e32 v2, v94, v245
	v_fmac_f32_e32 v246, 0x3eb8f4ab, v123
	v_fmac_f32_e32 v100, 0x3f4c4adb, v129
	v_mul_f32_e32 v250, 0x3ee437d1, v157
	v_add_f32_e32 v101, v102, v101
	v_fma_f32 v102, v146, s17, -v184
	v_add_f32_e32 v144, v148, v144
	v_mul_f32_e32 v148, 0xbe3c28d5, v127
	v_add_f32_e32 v2, v246, v2
	v_fmac_f32_e32 v247, 0xbf06c442, v125
	v_add_f32_e32 v99, v100, v99
	v_mov_b32_e32 v100, v250
	v_add_f32_e32 v101, v102, v101
	v_fma_f32 v102, v151, s21, -v233
	v_mul_f32_e32 v233, 0xbf1a4643, v137
	v_sub_f32_e32 v148, v159, v148
	v_add_f32_e32 v2, v247, v2
	v_fmac_f32_e32 v248, 0x3f2c7751, v127
	v_fmac_f32_e32 v100, 0xbf65296c, v131
	v_mul_f32_e32 v251, 0xbe8c1d8e, v161
	v_add_f32_e32 v101, v102, v101
	v_fma_f32 v102, v157, s18, -v234
	v_mov_b32_e32 v183, v233
	v_mul_f32_e32 v234, 0xbe8c1d8e, v139
	v_add_f32_e32 v144, v148, v144
	v_mul_f32_e32 v148, 0x3f06c442, v129
	v_add_f32_e32 v2, v248, v2
	v_fmac_f32_e32 v249, 0xbf4c4adb, v129
	v_add_f32_e32 v99, v100, v99
	v_mov_b32_e32 v100, v251
	v_fmac_f32_e32 v183, 0x3f4c4adb, v121
	v_mov_b32_e32 v184, v234
	v_sub_f32_e32 v148, v166, v148
	v_add_f32_e32 v2, v249, v2
	v_fmac_f32_e32 v250, 0x3f65296c, v131
	v_fmac_f32_e32 v100, 0x3f763a35, v133
	v_mul_f32_e32 v252, 0x3dbcf732, v165
	v_add_f32_e32 v101, v102, v101
	v_fma_f32 v102, v161, s14, -v235
	v_add_f32_e32 v183, v94, v183
	v_fmac_f32_e32 v184, 0xbf763a35, v123
	v_mul_f32_e32 v235, 0x3f6eb680, v142
	v_add_f32_e32 v144, v148, v144
	v_mul_f32_e32 v148, 0x3f763a35, v131
	v_add_f32_e32 v2, v250, v2
	v_fmac_f32_e32 v251, 0xbf763a35, v133
	v_mul_f32_e32 v214, 0x3f65296c, v133
	v_add_f32_e32 v99, v100, v99
	v_mov_b32_e32 v100, v252
	v_mul_f32_e32 v253, 0xbe3c28d5, v135
	v_add_f32_e32 v183, v184, v183
	v_mov_b32_e32 v184, v235
	v_sub_f32_e32 v148, v169, v148
	v_add_f32_e32 v2, v251, v2
	v_fmac_f32_e32 v252, 0x3f7ee86f, v134
	v_mul_f32_e32 v218, 0x3eb8f4ab, v134
	v_mul_f32_e32 v254, 0x3eb8f4ab, v136
	v_add_f32_e32 v101, v102, v101
	v_fma_f32 v102, v165, s19, -v236
	v_fmac_f32_e32 v184, 0x3eb8f4ab, v125
	v_mul_f32_e32 v236, 0xbf59a7d5, v146
	v_add_f32_e32 v144, v148, v144
	v_sub_f32_e32 v148, v174, v214
	v_add_f32_e32 v3, v252, v2
	v_fma_f32 v2, v119, s18, -v253
	v_mul_f32_e32 v105, 0xbf06c442, v138
	v_fmac_f32_e32 v237, 0xbf59a7d5, v119
	v_add_f32_e32 v183, v184, v183
	v_mov_b32_e32 v184, v236
	v_add_f32_e32 v144, v148, v144
	v_sub_f32_e32 v148, v177, v218
	v_add_f32_e32 v2, v93, v2
	v_fma_f32 v44, v120, s21, -v254
	v_mul_f32_e32 v108, 0x3f2c7751, v140
	v_add_f32_e32 v102, v102, v101
	v_add_f32_e32 v101, v93, v237
	v_fmac_f32_e32 v184, 0x3f06c442, v127
	v_mul_f32_e32 v237, 0x3dbcf732, v151
	v_add_f32_e32 v150, v148, v144
	v_mul_f32_e32 v144, 0x3f3d2fb0, v119
	v_add_f32_e32 v2, v44, v2
	v_fma_f32 v44, v122, s20, -v105
	v_mul_f32_e32 v109, 0xbf4c4adb, v143
	v_fmac_f32_e32 v238, 0x3ee437d1, v120
	v_add_f32_e32 v183, v184, v183
	v_mov_b32_e32 v184, v237
	v_add_f32_e32 v141, v144, v141
	v_mul_f32_e32 v144, 0x3dbcf732, v120
	v_add_f32_e32 v2, v44, v2
	v_fma_f32 v44, v124, s14, -v108
	v_mul_f32_e32 v110, 0x3f65296c, v147
	v_add_f32_e32 v101, v238, v101
	v_fmac_f32_e32 v184, 0xbf7ee86f, v129
	v_mul_f32_e32 v238, 0x3f3d2fb0, v157
	v_add_f32_e32 v141, v93, v141
	v_add_f32_e32 v144, v144, v145
	;; [unrolled: 1-line block ×3, first 2 shown]
	v_fma_f32 v44, v126, s17, -v109
	v_mul_f32_e32 v111, 0xbf763a35, v152
	v_fmac_f32_e32 v239, 0x3dbcf732, v122
	v_add_f32_e32 v183, v184, v183
	v_mov_b32_e32 v184, v238
	v_add_f32_e32 v141, v144, v141
	v_mul_f32_e32 v144, 0xbf1a4643, v122
	v_add_f32_e32 v2, v44, v2
	v_fma_f32 v44, v128, s15, -v110
	v_mul_f32_e32 v112, 0x3f7ee86f, v155
	v_add_f32_e32 v101, v239, v101
	v_fmac_f32_e32 v184, 0x3f2c7751, v131
	v_mul_f32_e32 v239, 0xbf7ba420, v161
	v_fma_f32 v185, v137, s19, -v185
	v_add_f32_e32 v144, v144, v149
	v_add_f32_e32 v2, v44, v2
	v_fma_f32 v44, v130, s19, -v111
	v_fmac_f32_e32 v240, 0xbf1a4643, v124
	v_add_f32_e32 v183, v184, v183
	v_mov_b32_e32 v184, v239
	v_add_f32_e32 v185, v94, v185
	v_fma_f32 v186, v139, s20, -v186
	v_add_f32_e32 v141, v144, v141
	v_mul_f32_e32 v144, 0xbf7ba420, v124
	v_add_f32_e32 v2, v44, v2
	v_fma_f32 v44, v132, s16, -v112
	v_fmac_f32_e32 v233, 0xbf4c4adb, v121
	v_add_f32_e32 v101, v240, v101
	v_fmac_f32_e32 v184, 0x3e3c28d5, v133
	v_mul_f32_e32 v240, 0x3ee437d1, v165
	v_add_f32_e32 v185, v186, v185
	v_fma_f32 v186, v142, s14, -v187
	v_add_f32_e32 v144, v144, v154
	v_add_f32_e32 v2, v44, v2
	;; [unrolled: 1-line block ×3, first 2 shown]
	v_fmac_f32_e32 v234, 0x3f763a35, v123
	v_fmac_f32_e32 v241, 0x3f6eb680, v126
	v_add_f32_e32 v183, v184, v183
	v_mov_b32_e32 v184, v240
	v_add_f32_e32 v185, v186, v185
	v_fma_f32 v186, v146, s15, -v188
	v_add_f32_e32 v141, v144, v141
	v_mul_f32_e32 v144, 0xbf59a7d5, v126
	v_add_f32_e32 v44, v234, v44
	v_fmac_f32_e32 v235, 0xbeb8f4ab, v125
	v_add_f32_e32 v101, v241, v101
	v_fmac_f32_e32 v242, 0xbf7ba420, v128
	v_fmac_f32_e32 v184, 0xbf65296c, v134
	v_mul_f32_e32 v241, 0xbf4c4adb, v135
	v_add_f32_e32 v185, v186, v185
	v_fma_f32 v186, v151, s18, -v221
	v_mul_f32_e32 v221, 0x3dbcf732, v137
	v_add_f32_e32 v144, v144, v160
	v_add_f32_e32 v44, v235, v44
	v_fmac_f32_e32 v236, 0xbf06c442, v127
	v_add_f32_e32 v101, v242, v101
	v_fmac_f32_e32 v243, 0x3f3d2fb0, v130
	v_add_f32_e32 v184, v184, v183
	v_mov_b32_e32 v183, v241
	v_mul_f32_e32 v242, 0x3f763a35, v136
	v_add_f32_e32 v185, v186, v185
	v_fma_f32 v186, v157, s16, -v222
	v_mov_b32_e32 v187, v221
	v_mul_f32_e32 v222, 0xbf7ba420, v139
	v_add_f32_e32 v141, v144, v141
	v_mul_f32_e32 v144, 0xbe8c1d8e, v128
	v_add_f32_e32 v44, v236, v44
	v_fmac_f32_e32 v237, 0x3f7ee86f, v129
	v_add_f32_e32 v101, v243, v101
	v_fmac_f32_e32 v183, 0xbf1a4643, v119
	v_mov_b32_e32 v243, v242
	v_fmac_f32_e32 v187, 0x3f7ee86f, v121
	v_mov_b32_e32 v188, v222
	v_add_f32_e32 v144, v144, v164
	v_add_f32_e32 v44, v237, v44
	v_fmac_f32_e32 v238, 0xbf2c7751, v131
	v_add_f32_e32 v183, v93, v183
	v_fmac_f32_e32 v243, 0xbe8c1d8e, v120
	v_add_f32_e32 v185, v186, v185
	v_fma_f32 v186, v161, s21, -v223
	v_add_f32_e32 v187, v94, v187
	v_fmac_f32_e32 v188, 0x3e3c28d5, v123
	v_mul_f32_e32 v223, 0xbe8c1d8e, v142
	v_add_f32_e32 v141, v144, v141
	v_mul_f32_e32 v144, 0x3ee437d1, v130
	v_add_f32_e32 v44, v238, v44
	v_fmac_f32_e32 v239, 0xbe3c28d5, v133
	v_fmac_f32_e32 v244, 0xbe8c1d8e, v132
	v_add_f32_e32 v183, v243, v183
	v_mul_f32_e32 v243, 0xbeb8f4ab, v138
	v_add_f32_e32 v187, v188, v187
	v_mov_b32_e32 v188, v223
	v_add_f32_e32 v144, v144, v170
	v_add_f32_e32 v44, v239, v44
	v_fmac_f32_e32 v240, 0x3f65296c, v134
	v_add_f32_e32 v101, v244, v101
	v_mov_b32_e32 v244, v243
	v_add_f32_e32 v185, v186, v185
	v_fma_f32 v186, v165, s17, -v224
	v_fmac_f32_e32 v188, 0xbf763a35, v125
	v_mul_f32_e32 v224, 0x3f6eb680, v146
	v_add_f32_e32 v141, v144, v141
	v_mul_f32_e32 v144, 0x3f6eb680, v132
	v_add_f32_e32 v45, v240, v44
	v_fma_f32 v44, v119, s17, -v241
	v_fmac_f32_e32 v244, 0x3f6eb680, v122
	v_fmac_f32_e32 v225, 0xbe8c1d8e, v119
	v_add_f32_e32 v187, v188, v187
	v_mov_b32_e32 v188, v224
	v_add_f32_e32 v144, v144, v173
	v_add_f32_e32 v44, v93, v44
	v_fma_f32 v46, v120, s19, -v242
	v_add_f32_e32 v183, v244, v183
	v_mul_f32_e32 v244, 0xbf06c442, v140
	v_add_f32_e32 v186, v186, v185
	v_add_f32_e32 v185, v93, v225
	v_fmac_f32_e32 v188, 0xbeb8f4ab, v127
	v_mul_f32_e32 v225, 0x3ee437d1, v151
	v_add_f32_e32 v149, v144, v141
	v_mul_f32_e32 v141, 0x3f6eb680, v137
	v_add_f32_e32 v44, v46, v44
	v_fma_f32 v46, v122, s21, -v243
	v_mul_f32_e32 v113, 0x3f7ee86f, v143
	v_fmac_f32_e32 v226, 0xbf59a7d5, v120
	v_add_f32_e32 v187, v188, v187
	v_mov_b32_e32 v188, v225
	v_mov_b32_e32 v137, v141
	v_mul_f32_e32 v139, 0x3f3d2fb0, v139
	v_add_f32_e32 v44, v46, v44
	v_fma_f32 v46, v124, s20, -v244
	v_fmac_f32_e32 v100, 0xbf7ee86f, v134
	v_mul_f32_e32 v114, 0xbf2c7751, v147
	v_add_f32_e32 v185, v226, v185
	v_fmac_f32_e32 v188, 0x3f65296c, v129
	v_mul_f32_e32 v226, 0xbf59a7d5, v157
	v_fmac_f32_e32 v137, 0x3eb8f4ab, v121
	v_mov_b32_e32 v144, v139
	v_add_f32_e32 v44, v46, v44
	v_fma_f32 v46, v126, s16, -v113
	v_add_f32_e32 v100, v100, v99
	v_mov_b32_e32 v99, v253
	v_mul_f32_e32 v115, 0xbe3c28d5, v152
	v_fmac_f32_e32 v227, 0x3f3d2fb0, v122
	v_add_f32_e32 v187, v188, v187
	v_mov_b32_e32 v188, v226
	v_add_f32_e32 v137, v94, v137
	v_fmac_f32_e32 v144, 0x3f2c7751, v123
	v_mul_f32_e32 v142, 0x3ee437d1, v142
	v_add_f32_e32 v44, v46, v44
	v_fma_f32 v46, v128, s14, -v114
	v_fmac_f32_e32 v99, 0xbf7ba420, v119
	v_mov_b32_e32 v255, v254
	v_mul_f32_e32 v116, 0x3f65296c, v155
	v_add_f32_e32 v185, v227, v185
	v_fmac_f32_e32 v188, 0x3f06c442, v131
	v_mul_f32_e32 v227, 0xbf1a4643, v161
	v_add_f32_e32 v137, v144, v137
	v_mov_b32_e32 v144, v142
	v_add_f32_e32 v44, v46, v44
	v_fma_f32 v46, v130, s18, -v115
	v_add_f32_e32 v99, v93, v99
	v_fmac_f32_e32 v255, 0x3f6eb680, v120
	v_fmac_f32_e32 v228, 0x3ee437d1, v124
	v_add_f32_e32 v187, v188, v187
	v_mov_b32_e32 v188, v227
	v_fmac_f32_e32 v144, 0x3f65296c, v125
	v_add_f32_e32 v44, v46, v44
	v_fma_f32 v46, v132, s15, -v116
	v_fmac_f32_e32 v221, 0xbf7ee86f, v121
	v_add_f32_e32 v99, v255, v99
	v_mov_b32_e32 v255, v105
	v_add_f32_e32 v185, v228, v185
	v_fmac_f32_e32 v188, 0xbf4c4adb, v133
	v_mul_f32_e32 v228, 0x3f3d2fb0, v165
	v_add_f32_e32 v137, v144, v137
	v_mul_f32_e32 v144, 0x3dbcf732, v146
	v_add_f32_e32 v44, v46, v44
	v_add_f32_e32 v46, v94, v221
	v_fmac_f32_e32 v222, 0xbe3c28d5, v123
	v_fmac_f32_e32 v255, 0xbf59a7d5, v122
	;; [unrolled: 1-line block ×3, first 2 shown]
	v_add_f32_e32 v187, v188, v187
	v_mov_b32_e32 v188, v228
	v_mov_b32_e32 v145, v144
	v_add_f32_e32 v46, v222, v46
	v_fmac_f32_e32 v223, 0x3f763a35, v125
	v_add_f32_e32 v99, v255, v99
	v_mov_b32_e32 v255, v108
	v_add_f32_e32 v185, v229, v185
	v_fmac_f32_e32 v230, 0x3dbcf732, v128
	v_fmac_f32_e32 v188, 0xbf2c7751, v134
	v_mul_f32_e32 v229, 0xbf7ee86f, v135
	v_fmac_f32_e32 v145, 0x3f7ee86f, v127
	v_add_f32_e32 v46, v223, v46
	v_fmac_f32_e32 v224, 0x3eb8f4ab, v127
	v_fmac_f32_e32 v255, 0x3f3d2fb0, v124
	v_add_f32_e32 v185, v230, v185
	v_fmac_f32_e32 v231, 0x3f6eb680, v130
	v_add_f32_e32 v188, v188, v187
	v_mov_b32_e32 v187, v229
	v_mul_f32_e32 v230, 0xbe3c28d5, v136
	v_add_f32_e32 v137, v145, v137
	v_mul_f32_e32 v145, 0xbe8c1d8e, v151
	v_add_f32_e32 v46, v224, v46
	v_fmac_f32_e32 v225, 0xbf65296c, v129
	v_add_f32_e32 v99, v255, v99
	v_mov_b32_e32 v255, v109
	v_add_f32_e32 v185, v231, v185
	v_fmac_f32_e32 v187, 0x3dbcf732, v119
	v_mov_b32_e32 v231, v230
	v_mov_b32_e32 v146, v145
	v_add_f32_e32 v46, v225, v46
	v_fmac_f32_e32 v226, 0xbf06c442, v131
	v_fmac_f32_e32 v255, 0xbf1a4643, v126
	v_add_f32_e32 v187, v93, v187
	v_fmac_f32_e32 v231, 0xbf7ba420, v120
	v_fmac_f32_e32 v146, 0x3f763a35, v129
	v_add_f32_e32 v46, v226, v46
	v_fmac_f32_e32 v227, 0x3f4c4adb, v133
	v_add_f32_e32 v99, v255, v99
	v_mov_b32_e32 v255, v110
	v_fmac_f32_e32 v232, 0xbf1a4643, v132
	v_add_f32_e32 v187, v231, v187
	v_mul_f32_e32 v231, 0x3f763a35, v138
	v_add_f32_e32 v137, v146, v137
	v_mul_f32_e32 v146, 0xbf1a4643, v157
	v_add_f32_e32 v46, v227, v46
	v_fmac_f32_e32 v228, 0x3f2c7751, v134
	v_fmac_f32_e32 v255, 0x3ee437d1, v128
	v_add_f32_e32 v185, v232, v185
	v_mov_b32_e32 v232, v231
	v_mov_b32_e32 v148, v146
	v_add_f32_e32 v47, v228, v46
	v_fma_f32 v46, v119, s16, -v229
	v_add_f32_e32 v99, v255, v99
	v_mov_b32_e32 v255, v111
	v_fmac_f32_e32 v232, 0xbe8c1d8e, v122
	v_fmac_f32_e32 v148, 0x3f4c4adb, v131
	v_add_f32_e32 v46, v93, v46
	v_fma_f32 v48, v120, s18, -v230
	v_fmac_f32_e32 v255, 0xbe8c1d8e, v130
	v_add_f32_e32 v187, v232, v187
	v_mul_f32_e32 v232, 0x3eb8f4ab, v140
	v_add_f32_e32 v137, v148, v137
	v_mul_f32_e32 v148, 0xbf59a7d5, v161
	v_add_f32_e32 v46, v48, v46
	v_fma_f32 v48, v122, s19, -v231
	v_add_f32_e32 v99, v255, v99
	v_mov_b32_e32 v255, v112
	v_mul_f32_e32 v117, 0xbf65296c, v143
	v_mov_b32_e32 v151, v148
	v_add_f32_e32 v46, v48, v46
	v_fma_f32 v48, v124, s21, -v232
	v_fmac_f32_e32 v255, 0x3dbcf732, v132
	v_mul_f32_e32 v189, 0xbf06c442, v147
	v_fmac_f32_e32 v151, 0x3f06c442, v133
	v_add_f32_e32 v46, v48, v46
	v_fma_f32 v48, v126, s15, -v117
	v_add_f32_e32 v99, v255, v99
	v_mov_b32_e32 v255, v244
	v_mul_f32_e32 v193, 0x3f4c4adb, v152
	v_add_f32_e32 v137, v151, v137
	v_mul_f32_e32 v151, 0xbf7ba420, v165
	v_add_f32_e32 v46, v48, v46
	v_fma_f32 v48, v128, s20, -v189
	v_fmac_f32_e32 v255, 0xbf59a7d5, v124
	v_mul_f32_e32 v197, 0x3f2c7751, v155
	v_mov_b32_e32 v153, v151
	v_add_f32_e32 v46, v48, v46
	v_fma_f32 v48, v130, s17, -v193
	v_add_f32_e32 v183, v255, v183
	v_mov_b32_e32 v255, v113
	v_fmac_f32_e32 v153, 0x3e3c28d5, v134
	v_mul_f32_e32 v135, 0xbeb8f4ab, v135
	v_add_f32_e32 v46, v48, v46
	v_fma_f32 v48, v132, s14, -v197
	v_fmac_f32_e32 v141, 0xbeb8f4ab, v121
	v_fmac_f32_e32 v255, 0x3dbcf732, v126
	v_add_f32_e32 v137, v153, v137
	v_mov_b32_e32 v153, v135
	v_mul_f32_e32 v154, 0xbf2c7751, v136
	v_add_f32_e32 v46, v48, v46
	v_add_f32_e32 v48, v94, v141
	v_fmac_f32_e32 v139, 0xbf2c7751, v123
	v_add_f32_e32 v183, v255, v183
	v_mov_b32_e32 v255, v114
	v_fmac_f32_e32 v153, 0x3f6eb680, v119
	v_mov_b32_e32 v136, v154
	v_add_f32_e32 v48, v139, v48
	v_fmac_f32_e32 v142, 0xbf65296c, v125
	v_fmac_f32_e32 v255, 0x3f3d2fb0, v128
	v_add_f32_e32 v153, v93, v153
	v_fmac_f32_e32 v136, 0x3f3d2fb0, v120
	v_mul_f32_e32 v138, 0xbf65296c, v138
	v_add_f32_e32 v48, v142, v48
	v_fmac_f32_e32 v144, 0xbf7ee86f, v127
	v_add_f32_e32 v183, v255, v183
	v_mov_b32_e32 v255, v115
	v_add_f32_e32 v136, v136, v153
	v_mov_b32_e32 v153, v138
	v_add_f32_e32 v48, v144, v48
	v_fmac_f32_e32 v145, 0xbf763a35, v129
	v_fmac_f32_e32 v255, 0xbf7ba420, v130
	;; [unrolled: 1-line block ×3, first 2 shown]
	v_mul_f32_e32 v140, 0xbf7ee86f, v140
	v_add_f32_e32 v48, v145, v48
	v_fmac_f32_e32 v146, 0xbf4c4adb, v131
	v_add_f32_e32 v183, v255, v183
	v_mov_b32_e32 v255, v116
	v_add_f32_e32 v136, v153, v136
	v_mov_b32_e32 v153, v140
	v_add_f32_e32 v48, v146, v48
	v_fmac_f32_e32 v148, 0xbf06c442, v133
	v_fmac_f32_e32 v255, 0x3ee437d1, v132
	;; [unrolled: 1-line block ×3, first 2 shown]
	v_mul_f32_e32 v143, 0xbf763a35, v143
	v_add_f32_e32 v48, v148, v48
	v_fmac_f32_e32 v151, 0xbe3c28d5, v134
	v_add_f32_e32 v183, v255, v183
	v_mov_b32_e32 v255, v232
	v_add_f32_e32 v136, v153, v136
	v_mov_b32_e32 v153, v143
	v_add_f32_e32 v49, v151, v48
	v_fma_f32 v48, v119, s21, -v135
	v_fmac_f32_e32 v255, 0x3f6eb680, v124
	v_fmac_f32_e32 v153, 0xbe8c1d8e, v126
	v_mul_f32_e32 v147, 0xbf4c4adb, v147
	v_add_f32_e32 v48, v93, v48
	v_fma_f32 v50, v120, s14, -v154
	v_add_f32_e32 v187, v255, v187
	v_mov_b32_e32 v255, v117
	v_add_f32_e32 v136, v153, v136
	v_mov_b32_e32 v153, v147
	v_add_f32_e32 v48, v50, v48
	v_fma_f32 v50, v122, s15, -v138
	v_fmac_f32_e32 v255, 0x3ee437d1, v126
	v_fmac_f32_e32 v153, 0xbf1a4643, v128
	v_mul_f32_e32 v152, 0xbf06c442, v152
	v_add_f32_e32 v48, v50, v48
	v_fma_f32 v50, v124, s16, -v140
	v_add_f32_e32 v187, v255, v187
	v_mov_b32_e32 v255, v189
	v_add_f32_e32 v136, v153, v136
	v_mov_b32_e32 v153, v152
	v_add_f32_e32 v48, v50, v48
	v_fma_f32 v50, v126, s19, -v143
	v_fmac_f32_e32 v255, 0xbf59a7d5, v128
	v_fmac_f32_e32 v153, 0xbf59a7d5, v130
	v_add_f32_e32 v48, v50, v48
	v_fma_f32 v50, v128, s17, -v147
	v_add_f32_e32 v187, v255, v187
	v_mov_b32_e32 v255, v193
	v_add_f32_e32 v136, v153, v136
	v_mul_f32_e32 v153, 0xbe3c28d5, v155
	v_add_f32_e32 v48, v50, v48
	v_fma_f32 v50, v130, s20, -v152
	v_fmac_f32_e32 v255, 0xbf1a4643, v130
	v_mov_b32_e32 v155, v153
	v_add_f32_e32 v48, v50, v48
	v_fma_f32 v50, v132, s18, -v153
	v_add_f32_e32 v187, v255, v187
	v_mov_b32_e32 v255, v197
	v_fmac_f32_e32 v155, 0xbf7ba420, v132
	v_add_f32_e32 v48, v50, v48
	v_mul_lo_u16_e32 v50, 17, v103
	v_fmac_f32_e32 v255, 0x3f3d2fb0, v132
	v_add_f32_e32 v136, v155, v136
	v_lshl_add_u32 v50, v50, 3, v201
	v_add_f32_e32 v187, v255, v187
	ds_write2_b64 v50, v[0:1], v[136:137] offset1:1
	ds_write2_b64 v50, v[149:150], v[178:179] offset0:2 offset1:3
	ds_write2_b64 v50, v[187:188], v[185:186] offset0:4 offset1:5
	;; [unrolled: 1-line block ×7, first 2 shown]
	ds_write_b64 v50, v[48:49] offset:128
.LBB0_17:
	s_or_b64 exec, exec, s[4:5]
	v_add_u32_e32 v56, 0x800, v106
	s_waitcnt lgkmcnt(0)
	s_barrier
	ds_read2_b64 v[44:47], v106 offset1:34
	ds_read2_b64 v[0:3], v106 offset0:204 offset1:255
	ds_read2_b64 v[64:67], v56 offset0:33 offset1:67
	;; [unrolled: 1-line block ×6, first 2 shown]
	s_and_saveexec_b64 s[4:5], s[2:3]
	s_cbranch_execz .LBB0_19
; %bb.18:
	v_add_u32_e32 v68, 0x770, v106
	ds_read2_b64 v[72:75], v68 offset1:255
.LBB0_19:
	s_or_b64 exec, exec, s[4:5]
	s_waitcnt lgkmcnt(5)
	v_mul_f32_e32 v70, v86, v3
	v_fmac_f32_e32 v70, v85, v2
	v_mul_f32_e32 v2, v86, v2
	v_fma_f32 v3, v85, v3, -v2
	s_waitcnt lgkmcnt(4)
	v_mul_f32_e32 v71, v84, v65
	v_mul_f32_e32 v2, v84, v64
	v_fmac_f32_e32 v71, v83, v64
	v_fma_f32 v64, v83, v65, -v2
	v_mul_f32_e32 v65, v82, v67
	v_mul_f32_e32 v2, v82, v66
	v_fmac_f32_e32 v65, v81, v66
	v_fma_f32 v66, v81, v67, -v2
	s_waitcnt lgkmcnt(2)
	v_mul_f32_e32 v2, v80, v60
	v_mul_f32_e32 v67, v80, v61
	v_fma_f32 v61, v79, v61, -v2
	v_mul_f32_e32 v2, v88, v62
	v_fmac_f32_e32 v67, v79, v60
	v_mul_f32_e32 v79, v88, v63
	v_fma_f32 v63, v87, v63, -v2
	s_waitcnt lgkmcnt(0)
	v_mul_f32_e32 v2, v92, v56
	v_mul_f32_e32 v80, v92, v57
	v_fma_f32 v81, v91, v57, -v2
	v_mul_f32_e32 v82, v90, v59
	v_mul_f32_e32 v2, v90, v58
	v_fmac_f32_e32 v79, v87, v62
	v_fmac_f32_e32 v80, v91, v56
	;; [unrolled: 1-line block ×3, first 2 shown]
	v_fma_f32 v83, v89, v59, -v2
	v_sub_f32_e32 v2, v44, v70
	v_sub_f32_e32 v3, v45, v3
	v_add_u32_e32 v69, 0x110, v107
	v_add_u32_e32 v68, 0x220, v107
	v_fma_f32 v44, v44, 2.0, -v2
	v_fma_f32 v45, v45, 2.0, -v3
	v_sub_f32_e32 v56, v46, v71
	v_sub_f32_e32 v57, v47, v64
	;; [unrolled: 1-line block ×12, first 2 shown]
	v_fma_f32 v46, v46, 2.0, -v56
	v_fma_f32 v47, v47, 2.0, -v57
	;; [unrolled: 1-line block ×12, first 2 shown]
	s_barrier
	ds_write2_b64 v209, v[44:45], v[2:3] offset1:17
	ds_write2_b64 v213, v[46:47], v[56:57] offset1:17
	;; [unrolled: 1-line block ×7, first 2 shown]
	s_and_saveexec_b64 s[4:5], s[2:3]
	s_cbranch_execz .LBB0_21
; %bb.20:
	v_mul_f32_e32 v0, v78, v74
	v_fma_f32 v0, v77, v75, -v0
	v_sub_f32_e32 v1, v73, v0
	v_mul_f32_e32 v0, v78, v75
	v_fmac_f32_e32 v0, v77, v74
	v_sub_f32_e32 v0, v72, v0
	v_lshl_add_u32 v44, v205, 3, v201
	v_fma_f32 v3, v73, 2.0, -v1
	v_fma_f32 v2, v72, 2.0, -v0
	v_add_u32_e32 v44, 0x800, v44
	ds_write2_b64 v44, v[2:3], v[0:1] offset0:220 offset1:237
.LBB0_21:
	s_or_b64 exec, exec, s[4:5]
	s_waitcnt lgkmcnt(0)
	s_barrier
	ds_read2_b64 v[0:3], v106 offset1:34
	ds_read2_b64 v[44:47], v106 offset0:136 offset1:170
	v_add_u32_e32 v72, 0x800, v106
	ds_read2_b64 v[48:51], v72 offset0:84 offset1:118
	ds_read2_b64 v[52:55], v106 offset0:204 offset1:238
	;; [unrolled: 1-line block ×5, first 2 shown]
	ds_read_b64 v[70:71], v106 offset:3808
	s_waitcnt lgkmcnt(0)
	s_barrier
	v_mul_f32_e32 v73, v5, v47
	v_fmac_f32_e32 v73, v4, v46
	v_mul_f32_e32 v46, v5, v46
	v_fma_f32 v46, v4, v47, -v46
	v_mul_f32_e32 v47, v7, v49
	v_fmac_f32_e32 v47, v6, v48
	v_mul_f32_e32 v48, v7, v48
	v_fma_f32 v48, v6, v49, -v48
	v_mul_f32_e32 v49, v5, v53
	v_mul_f32_e32 v5, v5, v52
	v_fmac_f32_e32 v49, v4, v52
	v_fma_f32 v52, v4, v53, -v5
	v_mul_f32_e32 v53, v7, v51
	v_mul_f32_e32 v4, v7, v50
	v_fmac_f32_e32 v53, v6, v50
	;; [unrolled: 4-line block ×4, first 2 shown]
	v_fma_f32 v18, v18, v61, -v4
	v_mul_f32_e32 v4, v13, v64
	v_fma_f32 v60, v12, v65, -v4
	v_mul_f32_e32 v61, v15, v63
	v_mul_f32_e32 v4, v15, v62
	;; [unrolled: 1-line block ×3, first 2 shown]
	v_fmac_f32_e32 v61, v14, v62
	v_fma_f32 v62, v14, v63, -v4
	v_mul_f32_e32 v4, v9, v66
	v_add_f32_e32 v13, v51, v54
	v_fmac_f32_e32 v55, v12, v64
	v_mul_f32_e32 v63, v9, v67
	v_fma_f32 v64, v8, v67, -v4
	v_mul_f32_e32 v4, v11, v70
	v_add_f32_e32 v5, v73, v47
	v_fma_f32 v14, -0.5, v13, v56
	v_fmac_f32_e32 v63, v8, v66
	v_fma_f32 v66, v10, v71, -v4
	v_add_f32_e32 v4, v0, v73
	v_fma_f32 v0, -0.5, v5, v0
	v_sub_f32_e32 v13, v17, v18
	v_mov_b32_e32 v16, v14
	v_add_f32_e32 v15, v17, v18
	v_sub_f32_e32 v5, v46, v48
	v_mov_b32_e32 v6, v0
	v_add_f32_e32 v7, v46, v48
	v_fmac_f32_e32 v16, 0xbf5db3d7, v13
	v_fmac_f32_e32 v14, 0x3f5db3d7, v13
	v_add_f32_e32 v13, v57, v17
	v_fma_f32 v15, -0.5, v15, v57
	v_fmac_f32_e32 v6, 0xbf5db3d7, v5
	v_fmac_f32_e32 v0, 0x3f5db3d7, v5
	v_add_f32_e32 v5, v1, v46
	v_fma_f32 v1, -0.5, v7, v1
	v_add_f32_e32 v13, v13, v18
	v_sub_f32_e32 v18, v51, v54
	v_mov_b32_e32 v17, v15
	v_add_f32_e32 v19, v55, v61
	v_sub_f32_e32 v8, v73, v47
	v_mov_b32_e32 v7, v1
	v_add_f32_e32 v9, v49, v53
	v_fmac_f32_e32 v17, 0x3f5db3d7, v18
	v_fmac_f32_e32 v15, 0xbf5db3d7, v18
	v_add_f32_e32 v18, v58, v55
	v_fma_f32 v58, -0.5, v19, v58
	v_mul_f32_e32 v65, v11, v71
	v_add_f32_e32 v4, v4, v47
	v_fmac_f32_e32 v7, 0x3f5db3d7, v8
	v_fmac_f32_e32 v1, 0xbf5db3d7, v8
	v_add_f32_e32 v8, v2, v49
	v_fma_f32 v2, -0.5, v9, v2
	v_sub_f32_e32 v19, v60, v62
	v_mov_b32_e32 v46, v58
	v_add_f32_e32 v47, v60, v62
	v_fmac_f32_e32 v65, v10, v70
	v_sub_f32_e32 v9, v52, v50
	v_mov_b32_e32 v10, v2
	v_add_f32_e32 v11, v52, v50
	v_fmac_f32_e32 v46, 0xbf5db3d7, v19
	v_fmac_f32_e32 v58, 0x3f5db3d7, v19
	v_add_f32_e32 v19, v59, v60
	v_fmac_f32_e32 v59, -0.5, v47
	v_add_f32_e32 v5, v5, v48
	v_fmac_f32_e32 v10, 0xbf5db3d7, v9
	v_fmac_f32_e32 v2, 0x3f5db3d7, v9
	v_add_f32_e32 v9, v3, v52
	v_fmac_f32_e32 v3, -0.5, v11
	v_sub_f32_e32 v12, v49, v53
	v_sub_f32_e32 v48, v55, v61
	v_mov_b32_e32 v47, v59
	v_add_f32_e32 v49, v63, v65
	v_mov_b32_e32 v11, v3
	v_fmac_f32_e32 v47, 0x3f5db3d7, v48
	v_fmac_f32_e32 v59, 0xbf5db3d7, v48
	v_add_f32_e32 v48, v44, v63
	v_fma_f32 v44, -0.5, v49, v44
	v_add_f32_e32 v9, v9, v50
	v_fmac_f32_e32 v11, 0x3f5db3d7, v12
	v_fmac_f32_e32 v3, 0xbf5db3d7, v12
	v_add_f32_e32 v12, v56, v51
	v_sub_f32_e32 v49, v64, v66
	v_mov_b32_e32 v50, v44
	v_add_f32_e32 v51, v64, v66
	v_fmac_f32_e32 v50, 0xbf5db3d7, v49
	v_fmac_f32_e32 v44, 0x3f5db3d7, v49
	v_add_f32_e32 v49, v45, v64
	v_fmac_f32_e32 v45, -0.5, v51
	v_add_f32_e32 v8, v8, v53
	v_add_f32_e32 v12, v12, v54
	;; [unrolled: 1-line block ×4, first 2 shown]
	v_sub_f32_e32 v52, v63, v65
	v_mov_b32_e32 v51, v45
	ds_write2_b64 v106, v[4:5], v[6:7] offset1:34
	ds_write2_b64 v106, v[0:1], v[8:9] offset0:68 offset1:102
	ds_write2_b64 v106, v[10:11], v[2:3] offset0:136 offset1:170
	;; [unrolled: 1-line block ×3, first 2 shown]
	ds_write_b64 v210, v[14:15] offset:2176
	v_add_u32_e32 v0, 0x800, v217
	v_add_f32_e32 v48, v48, v65
	v_add_f32_e32 v49, v49, v66
	v_fmac_f32_e32 v51, 0x3f5db3d7, v52
	v_fmac_f32_e32 v45, 0xbf5db3d7, v52
	ds_write2_b64 v0, v[18:19], v[46:47] offset0:50 offset1:84
	ds_write_b64 v217, v[58:59] offset:2992
	v_add_u32_e32 v0, 0x800, v118
	ds_write2_b64 v0, v[48:49], v[50:51] offset0:152 offset1:186
	ds_write_b64 v118, v[44:45] offset:3808
	s_waitcnt lgkmcnt(0)
	s_barrier
	ds_read2_b64 v[0:3], v106 offset1:34
	ds_read2_b64 v[4:7], v106 offset0:68 offset1:102
	ds_read2_b64 v[8:11], v106 offset0:204 offset1:238
	;; [unrolled: 1-line block ×6, first 2 shown]
	ds_read_b64 v[52:53], v106 offset:3808
	s_waitcnt lgkmcnt(6)
	v_mul_f32_e32 v54, v25, v7
	v_fmac_f32_e32 v54, v24, v6
	v_mul_f32_e32 v6, v25, v6
	v_fma_f32 v24, v24, v7, -v6
	s_waitcnt lgkmcnt(5)
	v_mul_f32_e32 v25, v27, v9
	v_mul_f32_e32 v6, v27, v8
	v_fmac_f32_e32 v25, v26, v8
	v_fma_f32 v26, v26, v9, -v6
	s_waitcnt lgkmcnt(4)
	v_mul_f32_e32 v27, v21, v15
	v_mul_f32_e32 v6, v21, v14
	v_fmac_f32_e32 v27, v20, v14
	v_fma_f32 v14, v20, v15, -v6
	s_waitcnt lgkmcnt(3)
	v_mul_f32_e32 v15, v23, v17
	v_mul_f32_e32 v6, v23, v16
	v_fmac_f32_e32 v15, v22, v16
	v_fma_f32 v16, v22, v17, -v6
	s_waitcnt lgkmcnt(2)
	v_mul_f32_e32 v6, v33, v44
	v_mul_f32_e32 v21, v33, v45
	v_fma_f32 v22, v32, v45, -v6
	v_mul_f32_e32 v6, v35, v10
	v_fmac_f32_e32 v21, v32, v44
	v_fma_f32 v32, v34, v11, -v6
	s_waitcnt lgkmcnt(1)
	v_mul_f32_e32 v33, v29, v49
	v_mul_f32_e32 v6, v29, v48
	v_add_f32_e32 v7, v25, v27
	v_mul_f32_e32 v23, v35, v11
	v_fmac_f32_e32 v33, v28, v48
	v_fma_f32 v28, v28, v49, -v6
	v_mul_f32_e32 v29, v31, v19
	v_mul_f32_e32 v6, v31, v18
	v_fma_f32 v8, -0.5, v7, v0
	v_fmac_f32_e32 v23, v34, v10
	v_fmac_f32_e32 v29, v30, v18
	v_fma_f32 v30, v30, v19, -v6
	v_mul_f32_e32 v6, v41, v46
	v_mul_f32_e32 v35, v43, v13
	v_sub_f32_e32 v7, v24, v16
	v_mov_b32_e32 v10, v8
	v_fma_f32 v34, v40, v47, -v6
	v_fmac_f32_e32 v35, v42, v12
	v_mul_f32_e32 v6, v43, v12
	v_fmac_f32_e32 v10, 0xbf737871, v7
	v_sub_f32_e32 v9, v26, v14
	v_sub_f32_e32 v11, v54, v25
	;; [unrolled: 1-line block ×3, first 2 shown]
	v_fmac_f32_e32 v8, 0x3f737871, v7
	v_mul_f32_e32 v31, v41, v47
	v_fmac_f32_e32 v10, 0xbf167918, v9
	v_add_f32_e32 v11, v11, v12
	v_fmac_f32_e32 v8, 0x3f167918, v9
	v_fmac_f32_e32 v31, v40, v46
	v_fma_f32 v40, v42, v13, -v6
	v_mul_f32_e32 v41, v37, v51
	v_mul_f32_e32 v6, v37, v50
	v_fmac_f32_e32 v10, 0x3e9e377a, v11
	v_fmac_f32_e32 v8, 0x3e9e377a, v11
	v_add_f32_e32 v11, v54, v15
	v_fmac_f32_e32 v41, v36, v50
	v_fma_f32 v36, v36, v51, -v6
	s_waitcnt lgkmcnt(0)
	v_mul_f32_e32 v37, v39, v53
	v_mul_f32_e32 v6, v39, v52
	v_fma_f32 v12, -0.5, v11, v0
	v_fmac_f32_e32 v37, v38, v52
	v_fma_f32 v38, v38, v53, -v6
	v_add_f32_e32 v6, v0, v54
	v_mov_b32_e32 v0, v12
	v_add_f32_e32 v6, v6, v25
	v_fmac_f32_e32 v0, 0x3f737871, v9
	v_sub_f32_e32 v11, v25, v54
	v_sub_f32_e32 v13, v27, v15
	v_fmac_f32_e32 v12, 0xbf737871, v9
	v_add_f32_e32 v9, v26, v14
	v_add_f32_e32 v6, v6, v27
	v_fmac_f32_e32 v0, 0xbf167918, v7
	v_add_f32_e32 v11, v11, v13
	v_fmac_f32_e32 v12, 0x3f167918, v7
	v_fma_f32 v9, -0.5, v9, v1
	v_add_f32_e32 v6, v6, v15
	v_fmac_f32_e32 v0, 0x3e9e377a, v11
	v_fmac_f32_e32 v12, 0x3e9e377a, v11
	v_sub_f32_e32 v15, v54, v15
	v_mov_b32_e32 v11, v9
	v_fmac_f32_e32 v11, 0x3f737871, v15
	v_sub_f32_e32 v17, v25, v27
	v_sub_f32_e32 v13, v24, v26
	;; [unrolled: 1-line block ×3, first 2 shown]
	v_fmac_f32_e32 v9, 0xbf737871, v15
	v_fmac_f32_e32 v11, 0x3f167918, v17
	v_add_f32_e32 v13, v13, v18
	v_fmac_f32_e32 v9, 0xbf167918, v17
	v_fmac_f32_e32 v11, 0x3e9e377a, v13
	;; [unrolled: 1-line block ×3, first 2 shown]
	v_add_f32_e32 v13, v24, v16
	v_fma_f32 v13, -0.5, v13, v1
	v_add_f32_e32 v7, v1, v24
	v_mov_b32_e32 v1, v13
	v_add_f32_e32 v7, v7, v26
	v_fmac_f32_e32 v1, 0xbf737871, v17
	v_fmac_f32_e32 v13, 0x3f737871, v17
	v_add_f32_e32 v7, v7, v14
	v_fmac_f32_e32 v1, 0x3f167918, v15
	v_fmac_f32_e32 v13, 0xbf167918, v15
	v_add_f32_e32 v15, v23, v33
	v_add_f32_e32 v7, v7, v16
	v_sub_f32_e32 v18, v26, v24
	v_sub_f32_e32 v14, v14, v16
	v_fma_f32 v16, -0.5, v15, v2
	v_add_f32_e32 v14, v18, v14
	v_sub_f32_e32 v15, v22, v30
	v_mov_b32_e32 v18, v16
	v_fmac_f32_e32 v18, 0xbf737871, v15
	v_sub_f32_e32 v17, v32, v28
	v_sub_f32_e32 v19, v21, v23
	;; [unrolled: 1-line block ×3, first 2 shown]
	v_fmac_f32_e32 v16, 0x3f737871, v15
	v_fmac_f32_e32 v18, 0xbf167918, v17
	v_add_f32_e32 v19, v19, v20
	v_fmac_f32_e32 v16, 0x3f167918, v17
	v_fmac_f32_e32 v18, 0x3e9e377a, v19
	;; [unrolled: 1-line block ×3, first 2 shown]
	v_add_f32_e32 v19, v21, v29
	v_fmac_f32_e32 v1, 0x3e9e377a, v14
	v_fmac_f32_e32 v13, 0x3e9e377a, v14
	v_add_f32_e32 v14, v2, v21
	v_fma_f32 v2, -0.5, v19, v2
	v_mov_b32_e32 v20, v2
	v_fmac_f32_e32 v20, 0x3f737871, v17
	v_sub_f32_e32 v19, v23, v21
	v_sub_f32_e32 v24, v33, v29
	v_fmac_f32_e32 v2, 0xbf737871, v17
	v_add_f32_e32 v17, v32, v28
	v_fmac_f32_e32 v20, 0xbf167918, v15
	v_add_f32_e32 v19, v19, v24
	v_fmac_f32_e32 v2, 0x3f167918, v15
	v_fma_f32 v17, -0.5, v17, v3
	v_fmac_f32_e32 v20, 0x3e9e377a, v19
	v_fmac_f32_e32 v2, 0x3e9e377a, v19
	v_sub_f32_e32 v24, v21, v29
	v_mov_b32_e32 v19, v17
	v_add_f32_e32 v14, v14, v23
	v_fmac_f32_e32 v19, 0x3f737871, v24
	v_sub_f32_e32 v23, v23, v33
	v_sub_f32_e32 v21, v22, v32
	v_sub_f32_e32 v25, v30, v28
	v_fmac_f32_e32 v17, 0xbf737871, v24
	v_fmac_f32_e32 v19, 0x3f167918, v23
	v_add_f32_e32 v21, v21, v25
	v_fmac_f32_e32 v17, 0xbf167918, v23
	v_fmac_f32_e32 v19, 0x3e9e377a, v21
	;; [unrolled: 1-line block ×3, first 2 shown]
	v_add_f32_e32 v21, v22, v30
	v_add_f32_e32 v15, v3, v22
	v_fmac_f32_e32 v3, -0.5, v21
	v_mov_b32_e32 v21, v3
	v_fmac_f32_e32 v21, 0xbf737871, v23
	v_fmac_f32_e32 v3, 0x3f737871, v23
	v_add_f32_e32 v23, v35, v41
	v_fmac_f32_e32 v21, 0x3f167918, v24
	v_fmac_f32_e32 v3, 0xbf167918, v24
	v_fma_f32 v24, -0.5, v23, v4
	v_add_f32_e32 v15, v15, v32
	v_sub_f32_e32 v22, v32, v22
	v_sub_f32_e32 v25, v28, v30
	;; [unrolled: 1-line block ×3, first 2 shown]
	v_mov_b32_e32 v26, v24
	v_add_f32_e32 v15, v15, v28
	v_add_f32_e32 v22, v22, v25
	v_fmac_f32_e32 v26, 0xbf737871, v23
	v_sub_f32_e32 v25, v40, v36
	v_sub_f32_e32 v27, v31, v35
	;; [unrolled: 1-line block ×3, first 2 shown]
	v_fmac_f32_e32 v24, 0x3f737871, v23
	v_fmac_f32_e32 v26, 0xbf167918, v25
	v_add_f32_e32 v27, v27, v28
	v_fmac_f32_e32 v24, 0x3f167918, v25
	v_fmac_f32_e32 v26, 0x3e9e377a, v27
	;; [unrolled: 1-line block ×3, first 2 shown]
	v_add_f32_e32 v27, v31, v37
	v_fmac_f32_e32 v21, 0x3e9e377a, v22
	v_fmac_f32_e32 v3, 0x3e9e377a, v22
	v_add_f32_e32 v22, v4, v31
	v_fma_f32 v4, -0.5, v27, v4
	v_add_f32_e32 v14, v14, v33
	v_mov_b32_e32 v28, v4
	v_add_f32_e32 v14, v14, v29
	v_fmac_f32_e32 v28, 0x3f737871, v25
	v_sub_f32_e32 v27, v35, v31
	v_sub_f32_e32 v29, v41, v37
	v_fmac_f32_e32 v4, 0xbf737871, v25
	v_add_f32_e32 v25, v40, v36
	v_fmac_f32_e32 v28, 0xbf167918, v23
	v_add_f32_e32 v27, v27, v29
	v_fmac_f32_e32 v4, 0x3f167918, v23
	v_fma_f32 v25, -0.5, v25, v5
	v_add_f32_e32 v15, v15, v30
	v_fmac_f32_e32 v28, 0x3e9e377a, v27
	v_fmac_f32_e32 v4, 0x3e9e377a, v27
	v_sub_f32_e32 v30, v31, v37
	v_mov_b32_e32 v27, v25
	v_fmac_f32_e32 v27, 0x3f737871, v30
	v_sub_f32_e32 v31, v35, v41
	v_sub_f32_e32 v29, v34, v40
	;; [unrolled: 1-line block ×3, first 2 shown]
	v_fmac_f32_e32 v25, 0xbf737871, v30
	v_fmac_f32_e32 v27, 0x3f167918, v31
	v_add_f32_e32 v29, v29, v32
	v_fmac_f32_e32 v25, 0xbf167918, v31
	v_fmac_f32_e32 v27, 0x3e9e377a, v29
	;; [unrolled: 1-line block ×3, first 2 shown]
	v_add_f32_e32 v29, v34, v38
	v_add_f32_e32 v23, v5, v34
	v_fmac_f32_e32 v5, -0.5, v29
	v_mov_b32_e32 v29, v5
	v_add_f32_e32 v22, v22, v35
	v_add_f32_e32 v23, v23, v40
	v_fmac_f32_e32 v29, 0xbf737871, v31
	v_sub_f32_e32 v32, v40, v34
	v_sub_f32_e32 v33, v36, v38
	v_fmac_f32_e32 v5, 0x3f737871, v31
	v_add_f32_e32 v22, v22, v41
	v_add_f32_e32 v23, v23, v36
	v_fmac_f32_e32 v29, 0x3f167918, v30
	v_add_f32_e32 v32, v32, v33
	v_fmac_f32_e32 v5, 0xbf167918, v30
	ds_write_b64 v107, v[6:7]
	ds_write2_b64 v107, v[10:11], v[0:1] offset0:102 offset1:204
	v_add_u32_e32 v0, 0x800, v107
	v_add_u32_e32 v1, 0x800, v69
	v_add_f32_e32 v22, v22, v37
	v_add_f32_e32 v23, v23, v38
	v_fmac_f32_e32 v29, 0x3e9e377a, v32
	v_fmac_f32_e32 v5, 0x3e9e377a, v32
	ds_write2_b64 v0, v[12:13], v[8:9] offset0:50 offset1:152
	ds_write2_b64 v69, v[18:19], v[20:21] offset0:102 offset1:204
	;; [unrolled: 1-line block ×5, first 2 shown]
	v_add_u32_e32 v1, 0x800, v68
	ds_write2_b64 v1, v[4:5], v[24:25] offset0:50 offset1:152
	s_waitcnt lgkmcnt(0)
	s_barrier
	s_and_b64 exec, exec, s[0:1]
	s_cbranch_execz .LBB0_23
; %bb.22:
	global_load_dwordx2 v[1:2], v104, s[6:7]
	ds_read_b64 v[5:6], v107
	v_mad_u64_u32 v[3:4], s[0:1], s10, v76, 0
	v_mad_u64_u32 v[7:8], s[0:1], s8, v103, 0
	s_waitcnt lgkmcnt(0)
	v_mad_u64_u32 v[9:10], s[2:3], s11, v76, v[4:5]
	s_mov_b32 s0, 0x10101010
	s_mov_b32 s1, 0x3f601010
	v_mad_u64_u32 v[10:11], s[2:3], s9, v103, v[8:9]
	v_mov_b32_e32 v12, s13
	s_mul_i32 s3, s9, 0xf0
	v_mov_b32_e32 v8, v10
	v_lshlrev_b64 v[7:8], 3, v[7:8]
	s_mul_hi_u32 s4, s8, 0xf0
	s_mul_i32 s2, s8, 0xf0
	s_add_i32 s3, s4, s3
	s_waitcnt vmcnt(0)
	v_mul_f32_e32 v4, v6, v2
	v_mul_f32_e32 v2, v5, v2
	v_fmac_f32_e32 v4, v5, v1
	v_fma_f32 v5, v1, v6, -v2
	v_cvt_f64_f32_e32 v[1:2], v4
	v_cvt_f64_f32_e32 v[5:6], v5
	v_mov_b32_e32 v4, v9
	v_lshlrev_b64 v[3:4], 3, v[3:4]
	v_mul_f64 v[1:2], v[1:2], s[0:1]
	v_mul_f64 v[5:6], v[5:6], s[0:1]
	v_add_co_u32_e32 v9, vcc, s12, v3
	v_addc_co_u32_e32 v10, vcc, v12, v4, vcc
	v_cvt_f32_f64_e32 v1, v[1:2]
	v_cvt_f32_f64_e32 v2, v[5:6]
	v_add_co_u32_e32 v5, vcc, v9, v7
	v_addc_co_u32_e32 v6, vcc, v10, v8, vcc
	global_store_dwordx2 v[5:6], v[1:2], off
	global_load_dwordx2 v[7:8], v104, s[6:7] offset:240
	ds_read2_b64 v[1:4], v107 offset0:30 offset1:60
	v_add_co_u32_e32 v5, vcc, s2, v5
	s_waitcnt vmcnt(0) lgkmcnt(0)
	v_mul_f32_e32 v11, v2, v8
	v_mul_f32_e32 v8, v1, v8
	v_fmac_f32_e32 v11, v1, v7
	v_fma_f32 v7, v7, v2, -v8
	v_cvt_f64_f32_e32 v[1:2], v11
	v_cvt_f64_f32_e32 v[7:8], v7
	v_mov_b32_e32 v11, s3
	v_addc_co_u32_e32 v6, vcc, v6, v11, vcc
	v_mul_f64 v[1:2], v[1:2], s[0:1]
	v_mul_f64 v[7:8], v[7:8], s[0:1]
	v_cvt_f32_f64_e32 v1, v[1:2]
	v_cvt_f32_f64_e32 v2, v[7:8]
	global_store_dwordx2 v[5:6], v[1:2], off
	global_load_dwordx2 v[1:2], v104, s[6:7] offset:480
	v_add_co_u32_e32 v5, vcc, s2, v5
	s_waitcnt vmcnt(0)
	v_mul_f32_e32 v7, v4, v2
	v_mul_f32_e32 v2, v3, v2
	v_fmac_f32_e32 v7, v3, v1
	v_fma_f32 v3, v1, v4, -v2
	v_cvt_f64_f32_e32 v[1:2], v7
	v_cvt_f64_f32_e32 v[3:4], v3
	v_mov_b32_e32 v7, s3
	v_addc_co_u32_e32 v6, vcc, v6, v7, vcc
	v_mul_f64 v[1:2], v[1:2], s[0:1]
	v_mul_f64 v[3:4], v[3:4], s[0:1]
	v_cvt_f32_f64_e32 v1, v[1:2]
	v_cvt_f32_f64_e32 v2, v[3:4]
	global_store_dwordx2 v[5:6], v[1:2], off
	global_load_dwordx2 v[7:8], v104, s[6:7] offset:720
	ds_read2_b64 v[1:4], v107 offset0:90 offset1:120
	v_add_co_u32_e32 v5, vcc, s2, v5
	s_waitcnt vmcnt(0) lgkmcnt(0)
	v_mul_f32_e32 v11, v2, v8
	v_mul_f32_e32 v8, v1, v8
	v_fmac_f32_e32 v11, v1, v7
	v_fma_f32 v7, v7, v2, -v8
	v_cvt_f64_f32_e32 v[1:2], v11
	v_cvt_f64_f32_e32 v[7:8], v7
	v_mov_b32_e32 v11, s3
	v_addc_co_u32_e32 v6, vcc, v6, v11, vcc
	v_mul_f64 v[1:2], v[1:2], s[0:1]
	v_mul_f64 v[7:8], v[7:8], s[0:1]
	v_cvt_f32_f64_e32 v1, v[1:2]
	v_cvt_f32_f64_e32 v2, v[7:8]
	global_store_dwordx2 v[5:6], v[1:2], off
	global_load_dwordx2 v[1:2], v104, s[6:7] offset:960
	v_add_co_u32_e32 v5, vcc, s2, v5
	s_waitcnt vmcnt(0)
	v_mul_f32_e32 v7, v4, v2
	v_mul_f32_e32 v2, v3, v2
	v_fmac_f32_e32 v7, v3, v1
	v_fma_f32 v3, v1, v4, -v2
	v_cvt_f64_f32_e32 v[1:2], v7
	v_cvt_f64_f32_e32 v[3:4], v3
	v_mov_b32_e32 v7, s3
	v_addc_co_u32_e32 v6, vcc, v6, v7, vcc
	v_mul_f64 v[1:2], v[1:2], s[0:1]
	v_mul_f64 v[3:4], v[3:4], s[0:1]
	v_cvt_f32_f64_e32 v1, v[1:2]
	v_cvt_f32_f64_e32 v2, v[3:4]
	;; [unrolled: 33-line block ×6, first 2 shown]
	global_store_dwordx2 v[5:6], v[1:2], off
	global_load_dwordx2 v[7:8], v104, s[6:7] offset:3120
	ds_read2_b64 v[1:4], v0 offset0:134 offset1:164
	v_add_co_u32_e32 v5, vcc, s2, v5
	s_waitcnt vmcnt(0) lgkmcnt(0)
	v_mul_f32_e32 v11, v2, v8
	v_mul_f32_e32 v8, v1, v8
	v_fmac_f32_e32 v11, v1, v7
	v_fma_f32 v7, v7, v2, -v8
	v_cvt_f64_f32_e32 v[1:2], v11
	v_cvt_f64_f32_e32 v[7:8], v7
	v_mov_b32_e32 v11, s3
	v_addc_co_u32_e32 v6, vcc, v6, v11, vcc
	v_mul_f64 v[1:2], v[1:2], s[0:1]
	v_mul_f64 v[7:8], v[7:8], s[0:1]
	v_cvt_f32_f64_e32 v1, v[1:2]
	v_cvt_f32_f64_e32 v2, v[7:8]
	global_store_dwordx2 v[5:6], v[1:2], off
	global_load_dwordx2 v[1:2], v104, s[6:7] offset:3360
	s_waitcnt vmcnt(0)
	v_mul_f32_e32 v7, v4, v2
	v_mul_f32_e32 v2, v3, v2
	v_fmac_f32_e32 v7, v3, v1
	v_fma_f32 v3, v1, v4, -v2
	v_cvt_f64_f32_e32 v[1:2], v7
	v_cvt_f64_f32_e32 v[3:4], v3
	v_mov_b32_e32 v7, s3
	v_mul_f64 v[1:2], v[1:2], s[0:1]
	v_mul_f64 v[3:4], v[3:4], s[0:1]
	v_cvt_f32_f64_e32 v1, v[1:2]
	v_cvt_f32_f64_e32 v2, v[3:4]
	v_add_co_u32_e32 v4, vcc, s2, v5
	v_addc_co_u32_e32 v5, vcc, v6, v7, vcc
	global_store_dwordx2 v[4:5], v[1:2], off
	global_load_dwordx2 v[6:7], v104, s[6:7] offset:3600
	ds_read2_b64 v[0:3], v0 offset0:194 offset1:224
	v_add_co_u32_e32 v4, vcc, s2, v4
	s_waitcnt vmcnt(0) lgkmcnt(0)
	v_mul_f32_e32 v8, v1, v7
	v_mul_f32_e32 v7, v0, v7
	v_fmac_f32_e32 v8, v0, v6
	v_fma_f32 v6, v6, v1, -v7
	v_cvt_f64_f32_e32 v[0:1], v8
	v_cvt_f64_f32_e32 v[6:7], v6
	v_mov_b32_e32 v8, s3
	v_addc_co_u32_e32 v5, vcc, v5, v8, vcc
	v_mul_f64 v[0:1], v[0:1], s[0:1]
	v_mul_f64 v[6:7], v[6:7], s[0:1]
	v_cvt_f32_f64_e32 v0, v[0:1]
	v_cvt_f32_f64_e32 v1, v[6:7]
	v_or_b32_e32 v6, 0x1e0, v103
	global_store_dwordx2 v[4:5], v[0:1], off
	global_load_dwordx2 v[0:1], v104, s[6:7] offset:3840
	v_mad_u64_u32 v[4:5], s[2:3], s8, v6, 0
	s_waitcnt vmcnt(0)
	v_mul_f32_e32 v7, v3, v1
	v_mul_f32_e32 v1, v2, v1
	v_fmac_f32_e32 v7, v2, v0
	v_fma_f32 v2, v0, v3, -v1
	v_cvt_f64_f32_e32 v[0:1], v7
	v_cvt_f64_f32_e32 v[2:3], v2
	v_mul_f64 v[0:1], v[0:1], s[0:1]
	v_mul_f64 v[2:3], v[2:3], s[0:1]
	v_mad_u64_u32 v[5:6], s[0:1], s9, v6, v[5:6]
	v_lshlrev_b64 v[4:5], 3, v[4:5]
	v_cvt_f32_f64_e32 v0, v[0:1]
	v_cvt_f32_f64_e32 v1, v[2:3]
	v_add_co_u32_e32 v2, vcc, v9, v4
	v_addc_co_u32_e32 v3, vcc, v10, v5, vcc
	global_store_dwordx2 v[2:3], v[0:1], off
.LBB0_23:
	s_endpgm
	.section	.rodata,"a",@progbits
	.p2align	6, 0x0
	.amdhsa_kernel bluestein_single_back_len510_dim1_sp_op_CI_CI
		.amdhsa_group_segment_fixed_size 28560
		.amdhsa_private_segment_fixed_size 0
		.amdhsa_kernarg_size 104
		.amdhsa_user_sgpr_count 6
		.amdhsa_user_sgpr_private_segment_buffer 1
		.amdhsa_user_sgpr_dispatch_ptr 0
		.amdhsa_user_sgpr_queue_ptr 0
		.amdhsa_user_sgpr_kernarg_segment_ptr 1
		.amdhsa_user_sgpr_dispatch_id 0
		.amdhsa_user_sgpr_flat_scratch_init 0
		.amdhsa_user_sgpr_private_segment_size 0
		.amdhsa_uses_dynamic_stack 0
		.amdhsa_system_sgpr_private_segment_wavefront_offset 0
		.amdhsa_system_sgpr_workgroup_id_x 1
		.amdhsa_system_sgpr_workgroup_id_y 0
		.amdhsa_system_sgpr_workgroup_id_z 0
		.amdhsa_system_sgpr_workgroup_info 0
		.amdhsa_system_vgpr_workitem_id 0
		.amdhsa_next_free_vgpr 256
		.amdhsa_next_free_sgpr 22
		.amdhsa_reserve_vcc 1
		.amdhsa_reserve_flat_scratch 0
		.amdhsa_float_round_mode_32 0
		.amdhsa_float_round_mode_16_64 0
		.amdhsa_float_denorm_mode_32 3
		.amdhsa_float_denorm_mode_16_64 3
		.amdhsa_dx10_clamp 1
		.amdhsa_ieee_mode 1
		.amdhsa_fp16_overflow 0
		.amdhsa_exception_fp_ieee_invalid_op 0
		.amdhsa_exception_fp_denorm_src 0
		.amdhsa_exception_fp_ieee_div_zero 0
		.amdhsa_exception_fp_ieee_overflow 0
		.amdhsa_exception_fp_ieee_underflow 0
		.amdhsa_exception_fp_ieee_inexact 0
		.amdhsa_exception_int_div_zero 0
	.end_amdhsa_kernel
	.text
.Lfunc_end0:
	.size	bluestein_single_back_len510_dim1_sp_op_CI_CI, .Lfunc_end0-bluestein_single_back_len510_dim1_sp_op_CI_CI
                                        ; -- End function
	.section	.AMDGPU.csdata,"",@progbits
; Kernel info:
; codeLenInByte = 20396
; NumSgprs: 26
; NumVgprs: 256
; ScratchSize: 0
; MemoryBound: 0
; FloatMode: 240
; IeeeMode: 1
; LDSByteSize: 28560 bytes/workgroup (compile time only)
; SGPRBlocks: 3
; VGPRBlocks: 63
; NumSGPRsForWavesPerEU: 26
; NumVGPRsForWavesPerEU: 256
; Occupancy: 1
; WaveLimiterHint : 1
; COMPUTE_PGM_RSRC2:SCRATCH_EN: 0
; COMPUTE_PGM_RSRC2:USER_SGPR: 6
; COMPUTE_PGM_RSRC2:TRAP_HANDLER: 0
; COMPUTE_PGM_RSRC2:TGID_X_EN: 1
; COMPUTE_PGM_RSRC2:TGID_Y_EN: 0
; COMPUTE_PGM_RSRC2:TGID_Z_EN: 0
; COMPUTE_PGM_RSRC2:TIDIG_COMP_CNT: 0
	.type	__hip_cuid_e859ac34cc5d98b1,@object ; @__hip_cuid_e859ac34cc5d98b1
	.section	.bss,"aw",@nobits
	.globl	__hip_cuid_e859ac34cc5d98b1
__hip_cuid_e859ac34cc5d98b1:
	.byte	0                               ; 0x0
	.size	__hip_cuid_e859ac34cc5d98b1, 1

	.ident	"AMD clang version 19.0.0git (https://github.com/RadeonOpenCompute/llvm-project roc-6.4.0 25133 c7fe45cf4b819c5991fe208aaa96edf142730f1d)"
	.section	".note.GNU-stack","",@progbits
	.addrsig
	.addrsig_sym __hip_cuid_e859ac34cc5d98b1
	.amdgpu_metadata
---
amdhsa.kernels:
  - .args:
      - .actual_access:  read_only
        .address_space:  global
        .offset:         0
        .size:           8
        .value_kind:     global_buffer
      - .actual_access:  read_only
        .address_space:  global
        .offset:         8
        .size:           8
        .value_kind:     global_buffer
      - .actual_access:  read_only
        .address_space:  global
        .offset:         16
        .size:           8
        .value_kind:     global_buffer
      - .actual_access:  read_only
        .address_space:  global
        .offset:         24
        .size:           8
        .value_kind:     global_buffer
      - .actual_access:  read_only
        .address_space:  global
        .offset:         32
        .size:           8
        .value_kind:     global_buffer
      - .offset:         40
        .size:           8
        .value_kind:     by_value
      - .address_space:  global
        .offset:         48
        .size:           8
        .value_kind:     global_buffer
      - .address_space:  global
        .offset:         56
        .size:           8
        .value_kind:     global_buffer
      - .address_space:  global
        .offset:         64
        .size:           8
        .value_kind:     global_buffer
      - .address_space:  global
        .offset:         72
        .size:           8
        .value_kind:     global_buffer
      - .offset:         80
        .size:           4
        .value_kind:     by_value
      - .address_space:  global
        .offset:         88
        .size:           8
        .value_kind:     global_buffer
      - .address_space:  global
        .offset:         96
        .size:           8
        .value_kind:     global_buffer
    .group_segment_fixed_size: 28560
    .kernarg_segment_align: 8
    .kernarg_segment_size: 104
    .language:       OpenCL C
    .language_version:
      - 2
      - 0
    .max_flat_workgroup_size: 238
    .name:           bluestein_single_back_len510_dim1_sp_op_CI_CI
    .private_segment_fixed_size: 0
    .sgpr_count:     26
    .sgpr_spill_count: 0
    .symbol:         bluestein_single_back_len510_dim1_sp_op_CI_CI.kd
    .uniform_work_group_size: 1
    .uses_dynamic_stack: false
    .vgpr_count:     256
    .vgpr_spill_count: 0
    .wavefront_size: 64
amdhsa.target:   amdgcn-amd-amdhsa--gfx906
amdhsa.version:
  - 1
  - 2
...

	.end_amdgpu_metadata
